;; amdgpu-corpus repo=ROCm/rocFFT kind=compiled arch=gfx1201 opt=O3
	.text
	.amdgcn_target "amdgcn-amd-amdhsa--gfx1201"
	.amdhsa_code_object_version 6
	.protected	fft_rtc_back_len4050_factors_10_5_3_3_3_3_wgs_135_tpt_135_halfLds_half_ip_CI_unitstride_sbrr_R2C_dirReg ; -- Begin function fft_rtc_back_len4050_factors_10_5_3_3_3_3_wgs_135_tpt_135_halfLds_half_ip_CI_unitstride_sbrr_R2C_dirReg
	.globl	fft_rtc_back_len4050_factors_10_5_3_3_3_3_wgs_135_tpt_135_halfLds_half_ip_CI_unitstride_sbrr_R2C_dirReg
	.p2align	8
	.type	fft_rtc_back_len4050_factors_10_5_3_3_3_3_wgs_135_tpt_135_halfLds_half_ip_CI_unitstride_sbrr_R2C_dirReg,@function
fft_rtc_back_len4050_factors_10_5_3_3_3_3_wgs_135_tpt_135_halfLds_half_ip_CI_unitstride_sbrr_R2C_dirReg: ; @fft_rtc_back_len4050_factors_10_5_3_3_3_3_wgs_135_tpt_135_halfLds_half_ip_CI_unitstride_sbrr_R2C_dirReg
; %bb.0:
	s_clause 0x2
	s_load_b128 s[4:7], s[0:1], 0x0
	s_load_b64 s[8:9], s[0:1], 0x50
	s_load_b64 s[10:11], s[0:1], 0x18
	v_mul_u32_u24_e32 v1, 0x1e6, v0
	v_mov_b32_e32 v3, 0
	s_delay_alu instid0(VALU_DEP_2) | instskip(NEXT) | instid1(VALU_DEP_1)
	v_lshrrev_b32_e32 v1, 16, v1
	v_add_nc_u32_e32 v5, ttmp9, v1
	v_mov_b32_e32 v1, 0
	v_mov_b32_e32 v2, 0
	;; [unrolled: 1-line block ×3, first 2 shown]
	s_wait_kmcnt 0x0
	v_cmp_lt_u64_e64 s2, s[6:7], 2
	s_delay_alu instid0(VALU_DEP_1)
	s_and_b32 vcc_lo, exec_lo, s2
	s_cbranch_vccnz .LBB0_8
; %bb.1:
	s_load_b64 s[2:3], s[0:1], 0x10
	v_mov_b32_e32 v1, 0
	v_mov_b32_e32 v2, 0
	s_add_nc_u64 s[12:13], s[10:11], 8
	s_mov_b64 s[14:15], 1
	s_wait_kmcnt 0x0
	s_add_nc_u64 s[16:17], s[2:3], 8
	s_mov_b32 s3, 0
.LBB0_2:                                ; =>This Inner Loop Header: Depth=1
	s_load_b64 s[18:19], s[16:17], 0x0
                                        ; implicit-def: $vgpr7_vgpr8
	s_mov_b32 s2, exec_lo
	s_wait_kmcnt 0x0
	v_or_b32_e32 v4, s19, v6
	s_delay_alu instid0(VALU_DEP_1)
	v_cmpx_ne_u64_e32 0, v[3:4]
	s_wait_alu 0xfffe
	s_xor_b32 s20, exec_lo, s2
	s_cbranch_execz .LBB0_4
; %bb.3:                                ;   in Loop: Header=BB0_2 Depth=1
	s_cvt_f32_u32 s2, s18
	s_cvt_f32_u32 s21, s19
	s_sub_nc_u64 s[24:25], 0, s[18:19]
	s_wait_alu 0xfffe
	s_delay_alu instid0(SALU_CYCLE_1) | instskip(SKIP_1) | instid1(SALU_CYCLE_2)
	s_fmamk_f32 s2, s21, 0x4f800000, s2
	s_wait_alu 0xfffe
	v_s_rcp_f32 s2, s2
	s_delay_alu instid0(TRANS32_DEP_1) | instskip(SKIP_1) | instid1(SALU_CYCLE_2)
	s_mul_f32 s2, s2, 0x5f7ffffc
	s_wait_alu 0xfffe
	s_mul_f32 s21, s2, 0x2f800000
	s_wait_alu 0xfffe
	s_delay_alu instid0(SALU_CYCLE_2) | instskip(SKIP_1) | instid1(SALU_CYCLE_2)
	s_trunc_f32 s21, s21
	s_wait_alu 0xfffe
	s_fmamk_f32 s2, s21, 0xcf800000, s2
	s_cvt_u32_f32 s23, s21
	s_wait_alu 0xfffe
	s_delay_alu instid0(SALU_CYCLE_1) | instskip(SKIP_1) | instid1(SALU_CYCLE_2)
	s_cvt_u32_f32 s22, s2
	s_wait_alu 0xfffe
	s_mul_u64 s[26:27], s[24:25], s[22:23]
	s_wait_alu 0xfffe
	s_mul_hi_u32 s29, s22, s27
	s_mul_i32 s28, s22, s27
	s_mul_hi_u32 s2, s22, s26
	s_mul_i32 s30, s23, s26
	s_wait_alu 0xfffe
	s_add_nc_u64 s[28:29], s[2:3], s[28:29]
	s_mul_hi_u32 s21, s23, s26
	s_mul_hi_u32 s31, s23, s27
	s_add_co_u32 s2, s28, s30
	s_wait_alu 0xfffe
	s_add_co_ci_u32 s2, s29, s21
	s_mul_i32 s26, s23, s27
	s_add_co_ci_u32 s27, s31, 0
	s_wait_alu 0xfffe
	s_add_nc_u64 s[26:27], s[2:3], s[26:27]
	s_wait_alu 0xfffe
	v_add_co_u32 v4, s2, s22, s26
	s_delay_alu instid0(VALU_DEP_1) | instskip(SKIP_1) | instid1(VALU_DEP_1)
	s_cmp_lg_u32 s2, 0
	s_add_co_ci_u32 s23, s23, s27
	v_readfirstlane_b32 s22, v4
	s_wait_alu 0xfffe
	s_delay_alu instid0(VALU_DEP_1)
	s_mul_u64 s[24:25], s[24:25], s[22:23]
	s_wait_alu 0xfffe
	s_mul_hi_u32 s27, s22, s25
	s_mul_i32 s26, s22, s25
	s_mul_hi_u32 s2, s22, s24
	s_mul_i32 s28, s23, s24
	s_wait_alu 0xfffe
	s_add_nc_u64 s[26:27], s[2:3], s[26:27]
	s_mul_hi_u32 s21, s23, s24
	s_mul_hi_u32 s22, s23, s25
	s_wait_alu 0xfffe
	s_add_co_u32 s2, s26, s28
	s_add_co_ci_u32 s2, s27, s21
	s_mul_i32 s24, s23, s25
	s_add_co_ci_u32 s25, s22, 0
	s_wait_alu 0xfffe
	s_add_nc_u64 s[24:25], s[2:3], s[24:25]
	s_wait_alu 0xfffe
	v_add_co_u32 v4, s2, v4, s24
	s_delay_alu instid0(VALU_DEP_1) | instskip(SKIP_1) | instid1(VALU_DEP_1)
	s_cmp_lg_u32 s2, 0
	s_add_co_ci_u32 s2, s23, s25
	v_mul_hi_u32 v13, v5, v4
	s_wait_alu 0xfffe
	v_mad_co_u64_u32 v[7:8], null, v5, s2, 0
	v_mad_co_u64_u32 v[9:10], null, v6, v4, 0
	;; [unrolled: 1-line block ×3, first 2 shown]
	s_delay_alu instid0(VALU_DEP_3) | instskip(SKIP_1) | instid1(VALU_DEP_4)
	v_add_co_u32 v4, vcc_lo, v13, v7
	s_wait_alu 0xfffd
	v_add_co_ci_u32_e32 v7, vcc_lo, 0, v8, vcc_lo
	s_delay_alu instid0(VALU_DEP_2) | instskip(SKIP_1) | instid1(VALU_DEP_2)
	v_add_co_u32 v4, vcc_lo, v4, v9
	s_wait_alu 0xfffd
	v_add_co_ci_u32_e32 v4, vcc_lo, v7, v10, vcc_lo
	s_wait_alu 0xfffd
	v_add_co_ci_u32_e32 v7, vcc_lo, 0, v12, vcc_lo
	s_delay_alu instid0(VALU_DEP_2) | instskip(SKIP_1) | instid1(VALU_DEP_2)
	v_add_co_u32 v4, vcc_lo, v4, v11
	s_wait_alu 0xfffd
	v_add_co_ci_u32_e32 v9, vcc_lo, 0, v7, vcc_lo
	s_delay_alu instid0(VALU_DEP_2) | instskip(SKIP_1) | instid1(VALU_DEP_3)
	v_mul_lo_u32 v10, s19, v4
	v_mad_co_u64_u32 v[7:8], null, s18, v4, 0
	v_mul_lo_u32 v11, s18, v9
	s_delay_alu instid0(VALU_DEP_2) | instskip(NEXT) | instid1(VALU_DEP_2)
	v_sub_co_u32 v7, vcc_lo, v5, v7
	v_add3_u32 v8, v8, v11, v10
	s_delay_alu instid0(VALU_DEP_1) | instskip(SKIP_1) | instid1(VALU_DEP_1)
	v_sub_nc_u32_e32 v10, v6, v8
	s_wait_alu 0xfffd
	v_subrev_co_ci_u32_e64 v10, s2, s19, v10, vcc_lo
	v_add_co_u32 v11, s2, v4, 2
	s_wait_alu 0xf1ff
	v_add_co_ci_u32_e64 v12, s2, 0, v9, s2
	v_sub_co_u32 v13, s2, v7, s18
	v_sub_co_ci_u32_e32 v8, vcc_lo, v6, v8, vcc_lo
	s_wait_alu 0xf1ff
	v_subrev_co_ci_u32_e64 v10, s2, 0, v10, s2
	s_delay_alu instid0(VALU_DEP_3) | instskip(NEXT) | instid1(VALU_DEP_3)
	v_cmp_le_u32_e32 vcc_lo, s18, v13
	v_cmp_eq_u32_e64 s2, s19, v8
	s_wait_alu 0xfffd
	v_cndmask_b32_e64 v13, 0, -1, vcc_lo
	v_cmp_le_u32_e32 vcc_lo, s19, v10
	s_wait_alu 0xfffd
	v_cndmask_b32_e64 v14, 0, -1, vcc_lo
	v_cmp_le_u32_e32 vcc_lo, s18, v7
	;; [unrolled: 3-line block ×3, first 2 shown]
	s_wait_alu 0xfffd
	v_cndmask_b32_e64 v15, 0, -1, vcc_lo
	v_cmp_eq_u32_e32 vcc_lo, s19, v10
	s_wait_alu 0xf1ff
	s_delay_alu instid0(VALU_DEP_2)
	v_cndmask_b32_e64 v7, v15, v7, s2
	s_wait_alu 0xfffd
	v_cndmask_b32_e32 v10, v14, v13, vcc_lo
	v_add_co_u32 v13, vcc_lo, v4, 1
	s_wait_alu 0xfffd
	v_add_co_ci_u32_e32 v14, vcc_lo, 0, v9, vcc_lo
	s_delay_alu instid0(VALU_DEP_3) | instskip(SKIP_2) | instid1(VALU_DEP_3)
	v_cmp_ne_u32_e32 vcc_lo, 0, v10
	s_wait_alu 0xfffd
	v_cndmask_b32_e32 v10, v13, v11, vcc_lo
	v_cndmask_b32_e32 v8, v14, v12, vcc_lo
	v_cmp_ne_u32_e32 vcc_lo, 0, v7
	s_wait_alu 0xfffd
	s_delay_alu instid0(VALU_DEP_2)
	v_dual_cndmask_b32 v7, v4, v10 :: v_dual_cndmask_b32 v8, v9, v8
.LBB0_4:                                ;   in Loop: Header=BB0_2 Depth=1
	s_wait_alu 0xfffe
	s_and_not1_saveexec_b32 s2, s20
	s_cbranch_execz .LBB0_6
; %bb.5:                                ;   in Loop: Header=BB0_2 Depth=1
	v_cvt_f32_u32_e32 v4, s18
	s_sub_co_i32 s20, 0, s18
	s_delay_alu instid0(VALU_DEP_1) | instskip(NEXT) | instid1(TRANS32_DEP_1)
	v_rcp_iflag_f32_e32 v4, v4
	v_mul_f32_e32 v4, 0x4f7ffffe, v4
	s_delay_alu instid0(VALU_DEP_1) | instskip(SKIP_1) | instid1(VALU_DEP_1)
	v_cvt_u32_f32_e32 v4, v4
	s_wait_alu 0xfffe
	v_mul_lo_u32 v7, s20, v4
	s_delay_alu instid0(VALU_DEP_1) | instskip(NEXT) | instid1(VALU_DEP_1)
	v_mul_hi_u32 v7, v4, v7
	v_add_nc_u32_e32 v4, v4, v7
	s_delay_alu instid0(VALU_DEP_1) | instskip(NEXT) | instid1(VALU_DEP_1)
	v_mul_hi_u32 v4, v5, v4
	v_mul_lo_u32 v7, v4, s18
	v_add_nc_u32_e32 v8, 1, v4
	s_delay_alu instid0(VALU_DEP_2) | instskip(NEXT) | instid1(VALU_DEP_1)
	v_sub_nc_u32_e32 v7, v5, v7
	v_subrev_nc_u32_e32 v9, s18, v7
	v_cmp_le_u32_e32 vcc_lo, s18, v7
	s_wait_alu 0xfffd
	s_delay_alu instid0(VALU_DEP_2) | instskip(NEXT) | instid1(VALU_DEP_1)
	v_dual_cndmask_b32 v7, v7, v9 :: v_dual_cndmask_b32 v4, v4, v8
	v_cmp_le_u32_e32 vcc_lo, s18, v7
	s_delay_alu instid0(VALU_DEP_2) | instskip(SKIP_1) | instid1(VALU_DEP_1)
	v_add_nc_u32_e32 v8, 1, v4
	s_wait_alu 0xfffd
	v_dual_cndmask_b32 v7, v4, v8 :: v_dual_mov_b32 v8, v3
.LBB0_6:                                ;   in Loop: Header=BB0_2 Depth=1
	s_wait_alu 0xfffe
	s_or_b32 exec_lo, exec_lo, s2
	s_load_b64 s[20:21], s[12:13], 0x0
	s_delay_alu instid0(VALU_DEP_1)
	v_mul_lo_u32 v4, v8, s18
	v_mul_lo_u32 v11, v7, s19
	v_mad_co_u64_u32 v[9:10], null, v7, s18, 0
	s_add_nc_u64 s[14:15], s[14:15], 1
	s_add_nc_u64 s[12:13], s[12:13], 8
	s_wait_alu 0xfffe
	v_cmp_ge_u64_e64 s2, s[14:15], s[6:7]
	s_add_nc_u64 s[16:17], s[16:17], 8
	s_delay_alu instid0(VALU_DEP_2) | instskip(NEXT) | instid1(VALU_DEP_3)
	v_add3_u32 v4, v10, v11, v4
	v_sub_co_u32 v5, vcc_lo, v5, v9
	s_wait_alu 0xfffd
	s_delay_alu instid0(VALU_DEP_2) | instskip(SKIP_3) | instid1(VALU_DEP_2)
	v_sub_co_ci_u32_e32 v4, vcc_lo, v6, v4, vcc_lo
	s_and_b32 vcc_lo, exec_lo, s2
	s_wait_kmcnt 0x0
	v_mul_lo_u32 v6, s21, v5
	v_mul_lo_u32 v4, s20, v4
	v_mad_co_u64_u32 v[1:2], null, s20, v5, v[1:2]
	s_delay_alu instid0(VALU_DEP_1)
	v_add3_u32 v2, v6, v2, v4
	s_wait_alu 0xfffe
	s_cbranch_vccnz .LBB0_9
; %bb.7:                                ;   in Loop: Header=BB0_2 Depth=1
	v_dual_mov_b32 v5, v7 :: v_dual_mov_b32 v6, v8
	s_branch .LBB0_2
.LBB0_8:
	v_dual_mov_b32 v8, v6 :: v_dual_mov_b32 v7, v5
.LBB0_9:
	s_lshl_b64 s[2:3], s[6:7], 3
	v_mul_hi_u32 v3, 0x1e573ad, v0
	s_wait_alu 0xfffe
	s_add_nc_u64 s[2:3], s[10:11], s[2:3]
	s_load_b64 s[0:1], s[0:1], 0x20
	s_load_b64 s[2:3], s[2:3], 0x0
	s_delay_alu instid0(VALU_DEP_1) | instskip(NEXT) | instid1(VALU_DEP_1)
	v_mul_u32_u24_e32 v3, 0x87, v3
	v_sub_nc_u32_e32 v12, v0, v3
	s_delay_alu instid0(VALU_DEP_1)
	v_add_nc_u32_e32 v17, 0x87, v12
	v_add_nc_u32_e32 v25, 0x10e, v12
	;; [unrolled: 1-line block ×4, first 2 shown]
	s_wait_kmcnt 0x0
	v_cmp_gt_u64_e32 vcc_lo, s[0:1], v[7:8]
	v_mul_lo_u32 v3, s2, v8
	v_mul_lo_u32 v4, s3, v7
	v_mad_co_u64_u32 v[0:1], null, s2, v7, v[1:2]
	v_cmp_le_u64_e64 s0, s[0:1], v[7:8]
	v_add_nc_u32_e32 v23, 0x21c, v12
	v_add_nc_u32_e32 v22, 0x2a3, v12
	;; [unrolled: 1-line block ×5, first 2 shown]
	v_add3_u32 v1, v4, v1, v3
	s_and_saveexec_b32 s1, s0
	s_wait_alu 0xfffe
	s_xor_b32 s0, exec_lo, s1
; %bb.10:
	v_add_nc_u32_e32 v17, 0x87, v12
	v_add_nc_u32_e32 v25, 0x10e, v12
	;; [unrolled: 1-line block ×9, first 2 shown]
; %bb.11:
	s_wait_alu 0xfffe
	s_or_saveexec_b32 s1, s0
	v_lshlrev_b64_e32 v[14:15], 2, v[0:1]
	s_wait_alu 0xfffe
	s_xor_b32 exec_lo, exec_lo, s1
	s_cbranch_execz .LBB0_13
; %bb.12:
	v_mov_b32_e32 v13, 0
	s_delay_alu instid0(VALU_DEP_2) | instskip(SKIP_2) | instid1(VALU_DEP_3)
	v_add_co_u32 v2, s0, s8, v14
	s_wait_alu 0xf1ff
	v_add_co_ci_u32_e64 v3, s0, s9, v15, s0
	v_lshlrev_b64_e32 v[0:1], 2, v[12:13]
	s_delay_alu instid0(VALU_DEP_1) | instskip(SKIP_1) | instid1(VALU_DEP_2)
	v_add_co_u32 v0, s0, v2, v0
	s_wait_alu 0xf1ff
	v_add_co_ci_u32_e64 v1, s0, v3, v1, s0
	s_clause 0x1d
	global_load_b32 v2, v[0:1], off
	global_load_b32 v3, v[0:1], off offset:540
	global_load_b32 v4, v[0:1], off offset:1080
	;; [unrolled: 1-line block ×29, first 2 shown]
	v_lshl_add_u32 v1, v12, 2, 0
	s_delay_alu instid0(VALU_DEP_1)
	v_add_nc_u32_e32 v44, 0x800, v1
	v_add_nc_u32_e32 v43, 0x400, v1
	;; [unrolled: 1-line block ×14, first 2 shown]
	s_wait_loadcnt 0x1c
	ds_store_2addr_b32 v1, v2, v3 offset1:135
	s_wait_loadcnt 0x1a
	ds_store_2addr_b32 v43, v4, v5 offset0:14 offset1:149
	s_wait_loadcnt 0x18
	ds_store_2addr_b32 v44, v6, v7 offset0:28 offset1:163
	;; [unrolled: 2-line block ×14, first 2 shown]
.LBB0_13:
	s_or_b32 exec_lo, exec_lo, s1
	v_lshlrev_b32_e32 v13, 2, v12
	global_wb scope:SCOPE_SE
	s_wait_dscnt 0x0
	s_barrier_signal -1
	s_barrier_wait -1
	global_inv scope:SCOPE_SE
	v_add_nc_u32_e32 v44, 0, v13
	v_cmp_gt_u32_e64 s0, 15, v12
	s_mov_b32 s1, exec_lo
	s_delay_alu instid0(VALU_DEP_2)
	v_add_nc_u32_e32 v47, 0x1c00, v44
	v_add_nc_u32_e32 v48, 0x2a00, v44
	v_add_nc_u32_e32 v0, 0x1000, v44
	v_add_nc_u32_e32 v45, 0x3600, v44
	v_add_nc_u32_e32 v10, 0x800, v44
	ds_load_2addr_b32 v[2:3], v47 offset0:98 offset1:233
	ds_load_2addr_b32 v[4:5], v48 offset0:12 offset1:147
	;; [unrolled: 1-line block ×4, first 2 shown]
	v_add_nc_u32_e32 v0, 0x400, v44
	v_add_nc_u32_e32 v49, 0x1400, v44
	;; [unrolled: 1-line block ×5, first 2 shown]
	ds_load_2addr_b32 v[0:1], v0 offset0:14 offset1:149
	ds_load_2addr_b32 v[38:39], v10 offset0:28 offset1:163
	;; [unrolled: 1-line block ×6, first 2 shown]
	s_wait_dscnt 0x9
	v_lshrrev_b32_e32 v27, 16, v2
	s_wait_dscnt 0x8
	v_add_f16_e32 v10, v2, v4
	s_wait_dscnt 0x7
	v_lshrrev_b32_e32 v11, 16, v6
	s_wait_dscnt 0x6
	v_lshrrev_b32_e32 v26, 16, v8
	v_lshrrev_b32_e32 v30, 16, v4
	v_sub_f16_e32 v31, v8, v4
	v_sub_f16_e32 v32, v6, v2
	v_add_f16_e32 v33, v6, v8
	v_sub_f16_e32 v51, v6, v8
	s_wait_dscnt 0x5
	v_fma_f16 v59, -0.5, v10, v0
	v_sub_f16_e32 v10, v11, v26
	v_sub_f16_e32 v52, v27, v30
	v_lshrrev_b32_e32 v68, 16, v0
	v_add_f16_e32 v31, v32, v31
	v_fma_f16 v57, -0.5, v33, v0
	v_fmamk_f16 v56, v10, 0xbb9c, v59
	v_fmac_f16_e32 v59, 0x3b9c, v10
	v_add_f16_e32 v32, v27, v30
	v_add_f16_e32 v33, v11, v26
	v_fmamk_f16 v60, v52, 0x3b9c, v57
	v_fmac_f16_e32 v56, 0xb8b4, v52
	v_fmac_f16_e32 v59, 0x38b4, v52
	v_fma_f16 v70, -0.5, v32, v68
	v_fmac_f16_e32 v57, 0xbb9c, v52
	v_sub_f16_e32 v32, v11, v27
	v_fmac_f16_e32 v56, 0x34f2, v31
	v_fmac_f16_e32 v59, 0x34f2, v31
	v_sub_f16_e32 v31, v2, v4
	v_sub_f16_e32 v52, v26, v30
	v_fmac_f16_e32 v68, -0.5, v33
	v_sub_f16_e32 v34, v4, v8
	v_sub_f16_e32 v35, v2, v6
	v_fmac_f16_e32 v60, 0xb8b4, v10
	v_fmamk_f16 v69, v51, 0x3b9c, v70
	v_fmac_f16_e32 v57, 0x38b4, v10
	v_add_f16_e32 v10, v32, v52
	v_fmac_f16_e32 v70, 0xbb9c, v51
	v_fmamk_f16 v71, v31, 0xbb9c, v68
	s_wait_dscnt 0x1
	v_add_f16_e32 v32, v41, v43
	v_sub_f16_e32 v11, v27, v11
	v_sub_f16_e32 v26, v30, v26
	v_fmac_f16_e32 v68, 0x3b9c, v31
	v_add_f16_e32 v34, v35, v34
	v_fmac_f16_e32 v69, 0x38b4, v31
	v_fmac_f16_e32 v70, 0xb8b4, v31
	;; [unrolled: 1-line block ×3, first 2 shown]
	v_fma_f16 v61, -0.5, v32, v39
	v_lshrrev_b32_e32 v30, 16, v41
	v_lshrrev_b32_e32 v31, 16, v43
	v_add_f16_e32 v11, v11, v26
	v_fmac_f16_e32 v68, 0xb8b4, v51
	s_wait_dscnt 0x0
	v_add_f16_e32 v32, v37, v29
	v_fmac_f16_e32 v60, 0x34f2, v34
	v_fmac_f16_e32 v57, 0x34f2, v34
	;; [unrolled: 1-line block ×3, first 2 shown]
	v_lshrrev_b32_e32 v33, 16, v37
	v_lshrrev_b32_e32 v34, 16, v29
	v_fmac_f16_e32 v70, 0x34f2, v10
	v_fmac_f16_e32 v71, 0x34f2, v11
	;; [unrolled: 1-line block ×3, first 2 shown]
	v_fma_f16 v62, -0.5, v32, v39
	v_sub_f16_e32 v10, v29, v43
	v_sub_f16_e32 v11, v37, v41
	v_add_f16_e32 v32, v30, v31
	v_lshrrev_b32_e32 v64, 16, v39
	v_sub_f16_e32 v27, v33, v34
	v_sub_f16_e32 v35, v30, v31
	v_add_f16_e32 v10, v11, v10
	v_add_f16_e32 v11, v33, v34
	v_fma_f16 v65, -0.5, v32, v64
	v_sub_f16_e32 v32, v37, v29
	v_sub_f16_e32 v52, v41, v43
	;; [unrolled: 1-line block ×3, first 2 shown]
	v_fmac_f16_e32 v64, -0.5, v11
	v_sub_f16_e32 v54, v34, v31
	v_fmamk_f16 v66, v32, 0x3b9c, v65
	v_fmamk_f16 v26, v27, 0xbb9c, v61
	v_fmac_f16_e32 v61, 0x3b9c, v27
	v_fmamk_f16 v63, v35, 0x3b9c, v62
	v_sub_f16_e32 v51, v43, v29
	v_sub_f16_e32 v11, v41, v37
	v_fmamk_f16 v67, v52, 0xbb9c, v64
	v_sub_f16_e32 v30, v30, v33
	v_sub_f16_e32 v31, v31, v34
	v_fmac_f16_e32 v66, 0x38b4, v52
	v_add_f16_e32 v33, v53, v54
	v_fmac_f16_e32 v64, 0x3b9c, v52
	v_fmac_f16_e32 v62, 0xbb9c, v35
	;; [unrolled: 1-line block ×6, first 2 shown]
	v_add_f16_e32 v11, v11, v51
	v_fmac_f16_e32 v67, 0x38b4, v32
	v_add_f16_e32 v30, v30, v31
	v_fmac_f16_e32 v66, 0x34f2, v33
	v_fmac_f16_e32 v64, 0xb8b4, v32
	;; [unrolled: 1-line block ×4, first 2 shown]
	v_add_nc_u32_e32 v53, 0x1800, v44
	v_add_nc_u32_e32 v51, 0x2500, v44
	v_fmac_f16_e32 v26, 0x34f2, v10
	v_fmac_f16_e32 v61, 0x34f2, v10
	v_add_nc_u32_e32 v10, 0xc00, v44
	v_add_nc_u32_e32 v52, 0x3200, v44
	v_fmac_f16_e32 v63, 0x34f2, v11
	v_fmac_f16_e32 v67, 0x34f2, v30
	v_mul_f16_e32 v72, 0xb8b4, v66
	v_fmac_f16_e32 v64, 0x34f2, v30
	v_fmac_f16_e32 v62, 0x34f2, v11
	;; [unrolled: 1-line block ×3, first 2 shown]
	ds_load_2addr_b32 v[32:33], v53 offset0:84 offset1:219
	ds_load_2addr_b32 v[34:35], v51 offset0:62 offset1:197
	;; [unrolled: 1-line block ×4, first 2 shown]
	v_fmac_f16_e32 v72, 0x3a79, v26
	v_mul_f16_e32 v76, 0x38b4, v26
	ds_load_2addr_b32 v[26:27], v44 offset1:135
	v_mul_f16_e32 v73, 0xbb9c, v67
	v_mul_f16_e32 v74, 0xbb9c, v64
	;; [unrolled: 1-line block ×5, first 2 shown]
	v_fmac_f16_e32 v73, 0x34f2, v63
	v_fmac_f16_e32 v74, 0xb4f2, v62
	;; [unrolled: 1-line block ×5, first 2 shown]
	v_add_f16_e32 v55, v56, v72
	v_add_f16_e32 v54, v60, v73
	;; [unrolled: 1-line block ×3, first 2 shown]
	v_mul_f16_e32 v79, 0xba79, v65
	s_wait_dscnt 0x3
	v_add_f16_e32 v62, v33, v35
	s_wait_dscnt 0x2
	v_lshrrev_b32_e32 v80, 16, v31
	s_wait_dscnt 0x1
	v_lshrrev_b32_e32 v81, 16, v11
	v_fmac_f16_e32 v75, 0xba79, v61
	v_add_f16_e32 v65, v69, v76
	v_add_f16_e32 v63, v71, v77
	v_sub_f16_e32 v56, v56, v72
	v_sub_f16_e32 v67, v60, v73
	;; [unrolled: 1-line block ×3, first 2 shown]
	s_wait_dscnt 0x0
	v_fma_f16 v62, -0.5, v62, v27
	v_sub_f16_e32 v72, v80, v81
	v_lshrrev_b32_e32 v73, 16, v33
	v_lshrrev_b32_e32 v82, 16, v35
	v_sub_f16_e32 v60, v69, v76
	v_sub_f16_e32 v69, v71, v77
	;; [unrolled: 1-line block ×4, first 2 shown]
	v_add_f16_e32 v77, v31, v11
	v_fmac_f16_e32 v79, 0x38b4, v61
	v_add_f16_e32 v61, v59, v75
	v_add_f16_e32 v66, v68, v78
	v_sub_f16_e32 v59, v59, v75
	v_fmamk_f16 v75, v72, 0xbb9c, v62
	v_sub_f16_e32 v71, v73, v82
	v_fmac_f16_e32 v62, 0x3b9c, v72
	v_sub_f16_e32 v68, v68, v78
	v_add_f16_e32 v74, v76, v74
	v_fma_f16 v76, -0.5, v77, v27
	v_sub_f16_e32 v77, v35, v11
	v_sub_f16_e32 v78, v33, v31
	v_add_f16_e32 v64, v70, v79
	v_fmac_f16_e32 v75, 0xb8b4, v71
	v_fmac_f16_e32 v62, 0x38b4, v71
	v_sub_f16_e32 v70, v70, v79
	v_fmamk_f16 v79, v71, 0x3b9c, v76
	v_add_f16_e32 v77, v78, v77
	v_fmac_f16_e32 v76, 0xbb9c, v71
	v_add_f16_e32 v71, v73, v82
	v_lshrrev_b32_e32 v78, 16, v27
	v_fmac_f16_e32 v75, 0x34f2, v74
	v_fmac_f16_e32 v62, 0x34f2, v74
	v_sub_f16_e32 v83, v80, v73
	v_sub_f16_e32 v84, v81, v82
	v_add_f16_e32 v85, v80, v81
	v_fma_f16 v74, -0.5, v71, v78
	v_sub_f16_e32 v71, v31, v11
	v_pk_add_f16 v37, v39, v37
	v_fmac_f16_e32 v79, 0xb8b4, v72
	v_fmac_f16_e32 v76, 0x38b4, v72
	v_add_f16_e32 v72, v83, v84
	v_fmac_f16_e32 v78, -0.5, v85
	v_fmamk_f16 v83, v71, 0x3b9c, v74
	v_sub_f16_e32 v39, v33, v35
	v_fmac_f16_e32 v74, 0xbb9c, v71
	v_pk_add_f16 v37, v37, v41
	v_sub_f16_e32 v41, v73, v80
	v_sub_f16_e32 v73, v82, v81
	v_fmac_f16_e32 v83, 0x38b4, v39
	v_fmac_f16_e32 v74, 0xb8b4, v39
	v_pk_add_f16 v37, v37, v43
	v_fmamk_f16 v43, v39, 0xbb9c, v78
	v_add_f16_e32 v41, v41, v73
	v_fmac_f16_e32 v78, 0x3b9c, v39
	v_sub_f16_e32 v39, v28, v42
	v_sub_f16_e32 v73, v36, v40
	v_fmac_f16_e32 v79, 0x34f2, v77
	v_fmac_f16_e32 v76, 0x34f2, v77
	;; [unrolled: 1-line block ×4, first 2 shown]
	v_pk_add_f16 v72, v38, v36
	v_fmac_f16_e32 v43, 0x38b4, v71
	v_fmac_f16_e32 v78, 0xb8b4, v71
	v_add_f16_e32 v71, v40, v42
	v_add_f16_e32 v39, v73, v39
	v_lshrrev_b32_e32 v73, 16, v42
	v_lshrrev_b32_e32 v77, 16, v36
	;; [unrolled: 1-line block ×3, first 2 shown]
	v_add_f16_e32 v81, v36, v28
	v_lshrrev_b32_e32 v82, 16, v40
	v_pk_add_f16 v72, v72, v40
	v_fma_f16 v84, -0.5, v71, v38
	v_sub_f16_e32 v71, v77, v80
	v_fma_f16 v81, -0.5, v81, v38
	v_sub_f16_e32 v86, v82, v73
	v_pk_add_f16 v72, v72, v42
	v_sub_f16_e32 v85, v42, v28
	v_sub_f16_e32 v42, v40, v42
	v_fmamk_f16 v87, v71, 0xbb9c, v84
	v_fmac_f16_e32 v84, 0x3b9c, v71
	v_sub_f16_e32 v40, v40, v36
	v_fmamk_f16 v88, v86, 0x3b9c, v81
	v_fmac_f16_e32 v81, 0xbb9c, v86
	v_fmac_f16_e32 v87, 0xb8b4, v86
	;; [unrolled: 1-line block ×3, first 2 shown]
	v_add_f16_e32 v40, v40, v85
	v_fmac_f16_e32 v88, 0xb8b4, v71
	v_fmac_f16_e32 v81, 0x38b4, v71
	;; [unrolled: 1-line block ×4, first 2 shown]
	v_lshrrev_b32_e32 v38, 16, v38
	v_add_f16_e32 v39, v82, v73
	v_fmac_f16_e32 v88, 0x34f2, v40
	v_fmac_f16_e32 v81, 0x34f2, v40
	v_add_f16_e32 v40, v77, v80
	v_sub_f16_e32 v36, v36, v28
	v_fma_f16 v39, -0.5, v39, v38
	v_fmac_f16_e32 v43, 0x34f2, v41
	v_fmac_f16_e32 v78, 0x34f2, v41
	v_fmac_f16_e32 v38, -0.5, v40
	v_sub_f16_e32 v41, v77, v82
	v_sub_f16_e32 v71, v80, v73
	;; [unrolled: 1-line block ×3, first 2 shown]
	v_fmamk_f16 v77, v36, 0x3b9c, v39
	v_sub_f16_e32 v73, v73, v80
	v_fmamk_f16 v80, v42, 0xbb9c, v38
	v_fmac_f16_e32 v39, 0xbb9c, v36
	v_fmac_f16_e32 v38, 0x3b9c, v42
	v_add_f16_e32 v41, v41, v71
	v_fmac_f16_e32 v77, 0x38b4, v42
	v_add_f16_e32 v40, v40, v73
	v_fmac_f16_e32 v80, 0x38b4, v36
	v_fmac_f16_e32 v39, 0xb8b4, v42
	;; [unrolled: 1-line block ×3, first 2 shown]
	v_pk_add_f16 v27, v27, v31
	v_fmac_f16_e32 v77, 0x34f2, v41
	v_fmac_f16_e32 v80, 0x34f2, v40
	;; [unrolled: 1-line block ×4, first 2 shown]
	v_mul_f16_e32 v42, 0x38b4, v87
	v_pk_add_f16 v31, v27, v33
	v_mul_f16_e32 v36, 0xb8b4, v77
	v_pk_add_f16 v27, v37, v29
	v_pk_add_f16 v28, v72, v28
	v_mul_f16_e32 v37, 0xbb9c, v80
	v_mul_f16_e32 v40, 0xbb9c, v38
	;; [unrolled: 1-line block ×3, first 2 shown]
	v_fmac_f16_e32 v42, 0x3a79, v77
	v_mul_f16_e32 v77, 0x34f2, v80
	v_mul_f16_e32 v80, 0xb4f2, v38
	v_fmac_f16_e32 v36, 0x3a79, v87
	v_fmac_f16_e32 v37, 0x34f2, v88
	;; [unrolled: 1-line block ×6, first 2 shown]
	v_pk_add_f16 v35, v31, v35
	v_add_f16_e32 v71, v75, v36
	v_add_f16_e32 v29, v79, v37
	v_mul_f16_e32 v82, 0xba79, v39
	v_add_f16_e32 v31, v76, v40
	v_add_f16_e32 v33, v62, v72
	v_sub_f16_e32 v36, v75, v36
	v_add_f16_e32 v38, v43, v77
	v_sub_f16_e32 v37, v79, v37
	;; [unrolled: 2-line block ×3, first 2 shown]
	v_sub_f16_e32 v40, v62, v72
	v_sub_f16_e32 v43, v43, v77
	v_pk_add_f16 v72, v26, v30
	v_add_f16_e32 v75, v32, v34
	v_sub_f16_e32 v76, v10, v34
	v_sub_f16_e32 v77, v30, v32
	;; [unrolled: 1-line block ×3, first 2 shown]
	v_lshrrev_b32_e32 v79, 16, v30
	v_lshrrev_b32_e32 v80, 16, v10
	v_fmac_f16_e32 v82, 0x38b4, v84
	v_pk_add_f16 v72, v72, v32
	v_fma_f16 v75, -0.5, v75, v26
	v_lshrrev_b32_e32 v78, 16, v34
	v_add_f16_e32 v76, v77, v76
	v_add_f16_e32 v77, v30, v10
	v_lshrrev_b32_e32 v81, 16, v32
	v_sub_f16_e32 v84, v79, v80
	v_add_f16_e32 v73, v83, v42
	v_sub_f16_e32 v42, v83, v42
	v_sub_f16_e32 v83, v34, v10
	v_pk_add_f16 v85, v72, v34
	v_fma_f16 v77, -0.5, v77, v26
	v_sub_f16_e32 v72, v81, v78
	v_sub_f16_e32 v34, v32, v34
	v_fmamk_f16 v86, v84, 0xbb9c, v75
	v_fmac_f16_e32 v75, 0x3b9c, v84
	v_sub_f16_e32 v32, v32, v30
	v_fmamk_f16 v87, v72, 0x3b9c, v77
	v_fmac_f16_e32 v77, 0xbb9c, v72
	v_fmac_f16_e32 v86, 0xb8b4, v72
	;; [unrolled: 1-line block ×3, first 2 shown]
	v_add_f16_e32 v83, v32, v83
	v_add_f16_e32 v72, v74, v82
	v_sub_f16_e32 v32, v74, v82
	v_lshrrev_b32_e32 v26, 16, v26
	v_add_f16_e32 v74, v81, v78
	v_sub_f16_e32 v30, v30, v10
	v_pk_add_f16 v0, v0, v6
	v_fmac_f16_e32 v86, 0x34f2, v76
	v_fmac_f16_e32 v75, 0x34f2, v76
	v_fma_f16 v6, -0.5, v74, v26
	v_add_f16_e32 v74, v79, v80
	v_pk_add_f16 v11, v35, v11
	v_sub_f16_e32 v35, v79, v81
	v_sub_f16_e32 v76, v80, v78
	v_pk_add_f16 v0, v0, v2
	v_fmamk_f16 v2, v30, 0x3b9c, v6
	v_fmac_f16_e32 v26, -0.5, v74
	v_fmac_f16_e32 v6, 0xbb9c, v30
	v_add_f16_e32 v35, v35, v76
	v_sub_f16_e32 v74, v81, v79
	v_pk_add_f16 v0, v0, v4
	v_fmac_f16_e32 v2, 0x38b4, v34
	v_sub_f16_e32 v4, v78, v80
	v_fmamk_f16 v76, v34, 0xbb9c, v26
	v_fmac_f16_e32 v6, 0xb8b4, v34
	v_fmac_f16_e32 v26, 0x3b9c, v34
	v_pk_add_f16 v34, v1, v7
	v_pk_add_f16 v0, v0, v8
	v_fmac_f16_e32 v76, 0x38b4, v30
	v_add_f16_e32 v4, v74, v4
	v_fmac_f16_e32 v26, 0xb8b4, v30
	v_pk_add_f16 v8, v34, v3
	v_fmac_f16_e32 v2, 0x34f2, v35
	v_fmac_f16_e32 v6, 0x34f2, v35
	;; [unrolled: 1-line block ×4, first 2 shown]
	v_pk_add_f16 v4, v8, v5
	v_lshrrev_b32_e32 v8, 16, v9
	v_add_f16_e32 v35, v3, v5
	v_lshrrev_b32_e32 v74, 16, v7
	v_fmac_f16_e32 v87, 0xb8b4, v84
	v_fmac_f16_e32 v77, 0x38b4, v84
	v_lshrrev_b32_e32 v79, 16, v3
	v_fma_f16 v80, -0.5, v35, v1
	v_sub_f16_e32 v35, v74, v8
	v_lshrrev_b32_e32 v81, 16, v5
	v_fmac_f16_e32 v87, 0x34f2, v83
	v_fmac_f16_e32 v77, 0x34f2, v83
	v_sub_f16_e32 v30, v9, v5
	v_add_f16_e32 v34, v7, v9
	v_sub_f16_e32 v82, v7, v3
	v_fmamk_f16 v83, v35, 0xbb9c, v80
	v_sub_f16_e32 v84, v79, v81
	v_fmac_f16_e32 v80, 0x3b9c, v35
	v_pk_add_f16 v10, v85, v10
	v_sub_f16_e32 v78, v5, v9
	v_pk_add_f16 v4, v4, v9
	v_sub_f16_e32 v9, v7, v9
	v_sub_f16_e32 v7, v3, v7
	v_fma_f16 v85, -0.5, v34, v1
	v_sub_f16_e32 v3, v3, v5
	v_add_f16_e32 v5, v82, v30
	v_fmac_f16_e32 v83, 0xb8b4, v84
	v_fmac_f16_e32 v80, 0x38b4, v84
	v_lshrrev_b32_e32 v1, 16, v1
	v_add_f16_e32 v34, v79, v81
	v_add_f16_e32 v82, v74, v8
	v_fmac_f16_e32 v83, 0x34f2, v5
	v_fmac_f16_e32 v80, 0x34f2, v5
	v_add_f16_e32 v5, v7, v78
	v_sub_f16_e32 v7, v74, v79
	v_fma_f16 v78, -0.5, v34, v1
	v_sub_f16_e32 v34, v8, v81
	v_fmac_f16_e32 v1, -0.5, v82
	v_sub_f16_e32 v8, v81, v8
	v_fmamk_f16 v30, v84, 0x3b9c, v85
	v_fmac_f16_e32 v85, 0xbb9c, v84
	v_add_f16_e32 v7, v7, v34
	v_sub_f16_e32 v34, v79, v74
	v_fmamk_f16 v74, v3, 0xbb9c, v1
	v_fmamk_f16 v84, v9, 0x3b9c, v78
	v_fmac_f16_e32 v78, 0xbb9c, v9
	v_fmac_f16_e32 v1, 0x3b9c, v3
	v_add_f16_e32 v8, v34, v8
	v_fmac_f16_e32 v74, 0x38b4, v9
	v_fmac_f16_e32 v30, 0xb8b4, v35
	v_fmac_f16_e32 v84, 0x38b4, v3
	v_fmac_f16_e32 v78, 0xb8b4, v3
	v_fmac_f16_e32 v1, 0xb8b4, v9
	v_fmac_f16_e32 v74, 0x34f2, v8
	v_fmac_f16_e32 v85, 0x38b4, v35
	v_mul_i32_i24_e32 v34, 10, v17
	v_mul_i32_i24_e32 v79, 10, v25
	v_fmac_f16_e32 v84, 0x34f2, v7
	v_fmac_f16_e32 v30, 0x34f2, v5
	v_fmac_f16_e32 v78, 0x34f2, v7
	v_fmac_f16_e32 v1, 0x34f2, v8
	v_mul_f16_e32 v7, 0xbb9c, v74
	v_mul_f16_e32 v74, 0x34f2, v74
	v_lshl_add_u32 v35, v34, 2, 0
	v_lshl_add_u32 v34, v79, 2, 0
	v_fmac_f16_e32 v85, 0x34f2, v5
	v_mul_f16_e32 v5, 0xb8b4, v84
	v_mul_f16_e32 v8, 0x38b4, v83
	v_fmac_f16_e32 v7, 0x34f2, v30
	v_mul_f16_e32 v79, 0xbb9c, v1
	v_fmac_f16_e32 v74, 0x3b9c, v30
	v_mul_f16_e32 v30, 0xb8b4, v78
	v_mul_f16_e32 v1, 0xb4f2, v1
	;; [unrolled: 1-line block ×3, first 2 shown]
	v_fmac_f16_e32 v5, 0x3a79, v83
	v_fmac_f16_e32 v8, 0x3a79, v84
	v_fmac_f16_e32 v79, 0xb4f2, v85
	v_fmac_f16_e32 v30, 0xba79, v80
	v_fmac_f16_e32 v1, 0x3b9c, v85
	v_fmac_f16_e32 v78, 0x38b4, v80
	v_mul_u32_u24_e32 v3, 10, v12
	v_add_f16_e32 v80, v86, v5
	v_add_f16_e32 v83, v77, v79
	v_sub_f16_e32 v77, v77, v79
	v_add_f16_e32 v79, v75, v30
	v_sub_f16_e32 v30, v75, v30
	v_add_f16_e32 v75, v2, v8
	v_add_f16_e32 v82, v87, v7
	v_sub_f16_e32 v2, v2, v8
	v_add_f16_e32 v8, v76, v74
	v_sub_f16_e32 v74, v76, v74
	;; [unrolled: 2-line block ×4, first 2 shown]
	v_sub_f16_e32 v7, v87, v7
	v_sub_f16_e32 v6, v6, v78
	v_lshl_add_u32 v3, v3, 2, 0
	v_pk_add_f16 v78, v10, v4
	v_pack_b32_f16 v75, v80, v75
	v_pack_b32_f16 v76, v83, v76
	;; [unrolled: 1-line block ×3, first 2 shown]
	v_pk_add_f16 v4, v10, v4 neg_lo:[0,1] neg_hi:[0,1]
	v_pack_b32_f16 v10, v79, v26
	v_pack_b32_f16 v7, v7, v74
	;; [unrolled: 1-line block ×5, first 2 shown]
	global_wb scope:SCOPE_SE
	s_barrier_signal -1
	s_barrier_wait -1
	global_inv scope:SCOPE_SE
	ds_store_2addr_b32 v3, v78, v75 offset1:1
	ds_store_2addr_b32 v3, v8, v76 offset0:2 offset1:3
	ds_store_2addr_b32 v3, v10, v4 offset0:4 offset1:5
	;; [unrolled: 1-line block ×4, first 2 shown]
	v_and_b32_e32 v2, 0xffff, v17
	v_pk_add_f16 v81, v11, v28
	v_pack_b32_f16 v1, v71, v73
	v_pack_b32_f16 v3, v31, v41
	;; [unrolled: 1-line block ×3, first 2 shown]
	v_mul_u32_u24_e32 v2, 0xcccd, v2
	v_pk_add_f16 v5, v11, v28 neg_lo:[0,1] neg_hi:[0,1]
	v_pack_b32_f16 v6, v33, v72
	v_pack_b32_f16 v7, v37, v43
	;; [unrolled: 1-line block ×5, first 2 shown]
	v_pk_add_f16 v9, v0, v27
	ds_store_2addr_b32 v35, v81, v1 offset1:1
	ds_store_2addr_b32 v35, v4, v3 offset0:2 offset1:3
	ds_store_2addr_b32 v35, v6, v5 offset0:4 offset1:5
	;; [unrolled: 1-line block ×4, first 2 shown]
	v_pack_b32_f16 v1, v55, v65
	v_pack_b32_f16 v4, v54, v63
	v_and_b32_e32 v54, 0xff, v12
	v_lshrrev_b32_e32 v62, 19, v2
	v_pack_b32_f16 v2, v58, v66
	v_pk_add_f16 v0, v0, v27 neg_lo:[0,1] neg_hi:[0,1]
	v_pack_b32_f16 v5, v61, v64
	v_pack_b32_f16 v6, v67, v69
	;; [unrolled: 1-line block ×5, first 2 shown]
	ds_store_2addr_b32 v34, v9, v1 offset1:1
	ds_store_2addr_b32 v34, v4, v2 offset0:2 offset1:3
	ds_store_2addr_b32 v34, v5, v0 offset0:4 offset1:5
	ds_store_2addr_b32 v34, v8, v6 offset0:6 offset1:7
	ds_store_2addr_b32 v34, v11, v10 offset0:8 offset1:9
	v_mul_lo_u16 v4, 0xcd, v54
	v_mul_lo_u16 v3, v62, 10
	v_and_b32_e32 v7, 0xffff, v25
	global_wb scope:SCOPE_SE
	s_wait_dscnt 0x0
	s_barrier_signal -1
	v_lshrrev_b16 v39, 11, v4
	v_sub_nc_u16 v3, v17, v3
	s_barrier_wait -1
	global_inv scope:SCOPE_SE
	v_add_nc_u32_e32 v26, 0xe00, v44
	v_mul_lo_u16 v4, v39, 10
	v_and_b32_e32 v63, 0xffff, v3
	v_mul_u32_u24_e32 v3, 0xcccd, v7
	v_add_nc_u32_e32 v27, 0x1a00, v44
	v_add_nc_u32_e32 v28, 0x2800, v44
	v_sub_nc_u16 v4, v12, v4
	v_lshlrev_b32_e32 v0, 4, v63
	v_lshrrev_b32_e32 v56, 19, v3
	v_add_nc_u32_e32 v29, 0x3400, v44
	v_add_nc_u32_e32 v30, 0x2c00, v44
	v_and_b32_e32 v41, 0xff, v4
	v_and_b32_e32 v4, 0xffff, v22
	v_mul_lo_u16 v1, v56, 10
	global_load_b128 v[64:67], v0, s[4:5]
	v_mul_u32_u24_e32 v62, 0xc8, v62
	v_lshlrev_b32_e32 v5, 4, v41
	v_mul_u32_u24_e32 v4, 0xcccd, v4
	v_mul_u32_u24_e32 v56, 0xc8, v56
	global_load_b128 v[8:11], v5, s[4:5]
	v_lshrrev_b32_e32 v55, 19, v4
	s_delay_alu instid0(VALU_DEP_1) | instskip(NEXT) | instid1(VALU_DEP_1)
	v_mul_lo_u16 v4, v55, 10
	v_sub_nc_u16 v4, v22, v4
	s_delay_alu instid0(VALU_DEP_1) | instskip(NEXT) | instid1(VALU_DEP_1)
	v_and_b32_e32 v61, 0xffff, v4
	v_lshlrev_b32_e32 v4, 4, v61
	v_lshlrev_b32_e32 v61, 2, v61
	global_load_b128 v[4:7], v4, s[4:5]
	v_sub_nc_u16 v0, v25, v1
	v_and_b32_e32 v1, 0xffff, v24
	s_delay_alu instid0(VALU_DEP_2) | instskip(NEXT) | instid1(VALU_DEP_2)
	v_and_b32_e32 v57, 0xffff, v0
	v_mul_u32_u24_e32 v0, 0xcccd, v1
	s_delay_alu instid0(VALU_DEP_2) | instskip(NEXT) | instid1(VALU_DEP_2)
	v_lshlrev_b32_e32 v1, 4, v57
	v_lshrrev_b32_e32 v58, 19, v0
	v_lshlrev_b32_e32 v57, 2, v57
	global_load_b128 v[90:93], v1, s[4:5]
	v_mul_lo_u16 v0, v58, 10
	v_and_b32_e32 v1, 0xffff, v23
	v_add3_u32 v56, 0, v56, v57
	s_delay_alu instid0(VALU_DEP_3) | instskip(NEXT) | instid1(VALU_DEP_1)
	v_sub_nc_u16 v0, v24, v0
	v_and_b32_e32 v59, 0xffff, v0
	s_delay_alu instid0(VALU_DEP_4) | instskip(NEXT) | instid1(VALU_DEP_2)
	v_mul_u32_u24_e32 v0, 0xcccd, v1
	v_lshlrev_b32_e32 v1, 4, v59
	s_delay_alu instid0(VALU_DEP_2) | instskip(SKIP_3) | instid1(VALU_DEP_1)
	v_lshrrev_b32_e32 v43, 19, v0
	v_lshlrev_b32_e32 v59, 2, v59
	global_load_b128 v[94:97], v1, s[4:5]
	v_mul_lo_u16 v0, v43, 10
	v_sub_nc_u16 v0, v23, v0
	s_delay_alu instid0(VALU_DEP_1) | instskip(NEXT) | instid1(VALU_DEP_1)
	v_and_b32_e32 v60, 0xffff, v0
	v_lshlrev_b32_e32 v0, 4, v60
	v_lshlrev_b32_e32 v60, 2, v60
	global_load_b128 v[0:3], v0, s[4:5]
	ds_load_2addr_b32 v[36:37], v26 offset0:49 offset1:184
	ds_load_2addr_b32 v[68:69], v27 offset0:91 offset1:226
	;; [unrolled: 1-line block ×4, first 2 shown]
	v_add_nc_u32_e32 v26, 0x1200, v44
	v_add_nc_u32_e32 v27, 0x1e00, v44
	ds_load_2addr_b32 v[32:33], v26 offset0:63 offset1:198
	ds_load_2addr_b32 v[28:29], v27 offset0:105 offset1:240
	;; [unrolled: 1-line block ×3, first 2 shown]
	v_add_nc_u32_e32 v30, 0x3800, v44
	ds_load_2addr_b32 v[30:31], v30 offset0:61 offset1:196
	s_wait_dscnt 0x7
	v_lshrrev_b32_e32 v38, 16, v36
	s_wait_dscnt 0x6
	v_lshrrev_b32_e32 v40, 16, v68
	;; [unrolled: 2-line block ×4, first 2 shown]
	v_lshrrev_b32_e32 v71, 16, v37
	v_lshrrev_b32_e32 v78, 16, v69
	;; [unrolled: 1-line block ×4, first 2 shown]
	s_wait_dscnt 0x3
	v_lshrrev_b32_e32 v99, 16, v32
	s_wait_dscnt 0x2
	v_lshrrev_b32_e32 v100, 16, v28
	;; [unrolled: 2-line block ×3, first 2 shown]
	v_lshrrev_b32_e32 v88, 16, v33
	v_lshrrev_b32_e32 v89, 16, v29
	s_wait_dscnt 0x0
	v_lshrrev_b32_e32 v102, 16, v31
	s_wait_loadcnt 0x5
	v_lshrrev_b32_e32 v72, 16, v64
	v_lshrrev_b32_e32 v77, 16, v65
	;; [unrolled: 1-line block ×4, first 2 shown]
	s_delay_alu instid0(VALU_DEP_4) | instskip(NEXT) | instid1(VALU_DEP_4)
	v_mul_f16_e32 v83, v38, v72
	v_mul_f16_e32 v84, v40, v77
	;; [unrolled: 1-line block ×5, first 2 shown]
	v_fmac_f16_e32 v83, v36, v64
	v_mul_f16_e32 v36, v73, v81
	v_fma_f16 v80, v40, v65, -v77
	v_mul_f16_e32 v85, v42, v81
	v_fma_f16 v79, v38, v64, -v72
	;; [unrolled: 2-line block ×3, first 2 shown]
	v_fmac_f16_e32 v87, v75, v67
	v_fmac_f16_e32 v85, v73, v66
	;; [unrolled: 1-line block ×3, first 2 shown]
	v_fma_f16 v82, v70, v67, -v38
	v_lshrrev_b32_e32 v38, 16, v30
	s_wait_loadcnt 0x4
	v_lshrrev_b32_e32 v104, 16, v8
	s_wait_loadcnt 0x3
	;; [unrolled: 2-line block ×3, first 2 shown]
	v_lshrrev_b32_e32 v40, 16, v90
	v_lshrrev_b32_e32 v36, 16, v91
	;; [unrolled: 1-line block ×3, first 2 shown]
	s_delay_alu instid0(VALU_DEP_3) | instskip(NEXT) | instid1(VALU_DEP_3)
	v_mul_f16_e32 v75, v71, v40
	v_mul_f16_e32 v72, v78, v36
	;; [unrolled: 1-line block ×3, first 2 shown]
	s_delay_alu instid0(VALU_DEP_4) | instskip(NEXT) | instid1(VALU_DEP_4)
	v_mul_f16_e32 v77, v86, v42
	v_fmac_f16_e32 v75, v37, v90
	v_mul_f16_e32 v37, v37, v40
	v_lshrrev_b32_e32 v40, 16, v93
	v_fma_f16 v73, v78, v91, -v36
	v_mul_f16_e32 v36, v74, v42
	v_fmac_f16_e32 v77, v74, v92
	v_fma_f16 v71, v71, v90, -v37
	v_mul_f16_e32 v78, v98, v40
	v_mul_f16_e32 v37, v76, v40
	v_fma_f16 v74, v86, v92, -v36
	v_fmac_f16_e32 v72, v69, v91
	s_wait_loadcnt 0x1
	v_lshrrev_b32_e32 v40, 16, v94
	v_lshrrev_b32_e32 v36, 16, v95
	v_fmac_f16_e32 v78, v76, v93
	v_fma_f16 v76, v98, v93, -v37
	v_lshrrev_b32_e32 v37, 16, v96
	v_mul_f16_e32 v68, v99, v40
	v_mul_f16_e32 v40, v32, v40
	v_lshrrev_b32_e32 v42, 16, v97
	v_mul_f16_e32 v66, v100, v36
	v_mul_f16_e32 v36, v28, v36
	v_fmac_f16_e32 v68, v32, v94
	v_fma_f16 v32, v99, v94, -v40
	v_mul_f16_e32 v40, v26, v37
	v_fmac_f16_e32 v66, v28, v95
	v_mul_f16_e32 v28, v30, v42
	v_mul_f16_e32 v69, v101, v37
	;; [unrolled: 1-line block ×3, first 2 shown]
	v_lshl_add_u32 v37, v23, 2, 0
	v_fma_f16 v64, v100, v95, -v36
	v_lshl_add_u32 v36, v22, 2, 0
	v_fma_f16 v65, v101, v96, -v40
	s_wait_loadcnt 0x0
	v_lshrrev_b32_e32 v42, 16, v0
	v_lshrrev_b32_e32 v92, 16, v1
	v_mad_i32_i24 v40, 0xffffffdc, v17, v35
	v_fma_f16 v67, v38, v97, -v28
	v_lshl_add_u32 v38, v21, 2, 0
	v_fmac_f16_e32 v69, v26, v96
	v_fmac_f16_e32 v70, v30, v97
	v_mul_f16_e32 v30, v88, v42
	ds_load_b32 v28, v37
	ds_load_b32 v26, v36
	;; [unrolled: 1-line block ×4, first 2 shown]
	v_lshrrev_b32_e32 v90, 16, v27
	v_lshrrev_b32_e32 v91, 16, v2
	v_mul_f16_e32 v98, v89, v92
	v_fmac_f16_e32 v30, v33, v0
	v_mul_f16_e32 v33, v33, v42
	v_add_nc_u32_e32 v42, 0x1600, v44
	v_mul_f16_e32 v99, v90, v91
	v_fmac_f16_e32 v98, v29, v1
	v_mul_f16_e32 v29, v29, v92
	v_add_nc_u32_e32 v92, 0x2200, v44
	v_add_nc_u32_e32 v95, 0x3000, v44
	ds_load_2addr_b32 v[93:94], v42 offset0:77 offset1:212
	v_fmac_f16_e32 v99, v27, v2
	v_mul_f16_e32 v27, v27, v91
	ds_load_2addr_b32 v[91:92], v92 offset0:119 offset1:254
	ds_load_2addr_b32 v[95:96], v95 offset0:33 offset1:168
	ds_load_b32 v105, v44 offset:15660
	v_lshrrev_b32_e32 v100, 16, v3
	v_fma_f16 v101, v89, v1, -v29
	v_fma_f16 v29, v90, v2, -v27
	s_wait_dscnt 0x4
	v_lshrrev_b32_e32 v106, 16, v97
	v_mul_f16_e32 v1, v104, v97
	v_mul_f16_e32 v103, v102, v100
	v_lshrrev_b32_e32 v2, 16, v9
	v_lshrrev_b32_e32 v90, 16, v4
	s_delay_alu instid0(VALU_DEP_4) | instskip(NEXT) | instid1(VALU_DEP_4)
	v_fma_f16 v1, v8, v106, -v1
	v_fmac_f16_e32 v103, v31, v3
	v_mul_f16_e32 v31, v31, v100
	v_fma_f16 v100, v88, v0, -v33
	v_mul_f16_e32 v0, v104, v106
	v_lshrrev_b32_e32 v33, 16, v11
	s_wait_dscnt 0x3
	v_mul_f16_e32 v27, v94, v2
	v_fma_f16 v102, v102, v3, -v31
	v_lshrrev_b32_e32 v3, 16, v94
	v_fmac_f16_e32 v0, v8, v97
	v_lshrrev_b32_e32 v8, 16, v10
	s_wait_dscnt 0x1
	v_lshrrev_b32_e32 v89, 16, v96
	v_lshrrev_b32_e32 v31, 16, v92
	v_mul_f16_e32 v2, v3, v2
	v_fma_f16 v3, v3, v9, -v27
	v_mul_f16_e32 v88, v92, v8
	v_mul_f16_e32 v27, v96, v33
	;; [unrolled: 1-line block ×3, first 2 shown]
	ds_load_b32 v104, v44
	v_mul_f16_e32 v8, v31, v8
	v_fma_f16 v31, v31, v10, -v88
	v_lshrrev_b32_e32 v88, 16, v93
	v_fma_f16 v27, v89, v11, -v27
	v_fmac_f16_e32 v33, v96, v11
	v_lshrrev_b32_e32 v11, 16, v95
	v_lshrrev_b32_e32 v89, 16, v6
	v_fmac_f16_e32 v2, v94, v9
	v_fmac_f16_e32 v8, v92, v10
	v_mul_f16_e32 v92, v88, v90
	v_lshrrev_b32_e32 v9, 16, v91
	v_lshrrev_b32_e32 v10, 16, v5
	v_mul_f16_e32 v90, v93, v90
	v_mul_f16_e32 v94, v11, v89
	s_wait_dscnt 0x1
	v_lshrrev_b32_e32 v106, 16, v105
	v_fmac_f16_e32 v92, v93, v4
	v_mul_f16_e32 v93, v9, v10
	v_mul_f16_e32 v10, v91, v10
	;; [unrolled: 1-line block ×3, first 2 shown]
	v_fmac_f16_e32 v94, v95, v6
	v_mul_f16_e32 v97, v106, v107
	v_fma_f16 v95, v88, v4, -v90
	v_mul_f16_e32 v4, v105, v107
	v_fmac_f16_e32 v93, v91, v5
	v_fma_f16 v96, v9, v5, -v10
	v_fma_f16 v91, v11, v6, -v89
	v_fmac_f16_e32 v97, v105, v7
	v_sub_f16_e32 v5, v0, v2
	v_sub_f16_e32 v6, v33, v8
	v_fma_f16 v90, v106, v7, -v4
	v_sub_f16_e32 v4, v1, v3
	v_and_b32_e32 v7, 0xffff, v39
	v_sub_f16_e32 v9, v27, v31
	s_wait_dscnt 0x0
	v_lshrrev_b32_e32 v10, 16, v104
	v_add_f16_e32 v5, v5, v6
	v_lshlrev_b32_e32 v6, 2, v41
	v_mul_u32_u24_e32 v7, 0xc8, v7
	v_add_f16_e32 v4, v4, v9
	v_add_f16_e32 v9, v104, v0
	;; [unrolled: 1-line block ×4, first 2 shown]
	v_add3_u32 v7, 0, v7, v6
	v_add_f16_e32 v6, v3, v31
	v_add_f16_e32 v9, v9, v2
	v_add_f16_e32 v11, v11, v3
	v_fma_f16 v105, -0.5, v39, v104
	v_sub_f16_e32 v88, v1, v27
	v_fma_f16 v106, -0.5, v6, v10
	v_add_f16_e32 v6, v9, v8
	v_add_f16_e32 v9, v11, v31
	v_sub_f16_e32 v89, v0, v33
	v_sub_f16_e32 v109, v2, v8
	;; [unrolled: 1-line block ×3, first 2 shown]
	v_add_f16_e32 v6, v6, v33
	v_add_f16_e32 v9, v9, v27
	v_sub_f16_e32 v8, v8, v33
	v_fmamk_f16 v11, v88, 0xbb9c, v105
	v_sub_f16_e32 v107, v3, v31
	v_fmamk_f16 v108, v89, 0x3b9c, v106
	v_pack_b32_f16 v9, v6, v9
	v_add_f16_e32 v6, v0, v33
	v_add_f16_e32 v2, v2, v8
	;; [unrolled: 1-line block ×3, first 2 shown]
	v_fmac_f16_e32 v11, 0xb8b4, v107
	v_fmac_f16_e32 v108, 0x38b4, v109
	v_fmac_f16_e32 v104, -0.5, v6
	v_sub_f16_e32 v1, v3, v1
	v_fmac_f16_e32 v10, -0.5, v8
	v_fmac_f16_e32 v11, 0x34f2, v5
	v_fmac_f16_e32 v108, 0x34f2, v4
	v_fmamk_f16 v8, v107, 0x3b9c, v104
	v_fmac_f16_e32 v104, 0xbb9c, v107
	v_sub_f16_e32 v3, v31, v27
	v_fmamk_f16 v27, v109, 0xbb9c, v10
	v_fmac_f16_e32 v10, 0x3b9c, v109
	v_fmac_f16_e32 v105, 0x3b9c, v88
	v_lshl_add_u32 v39, v24, 2, 0
	v_mad_i32_i24 v41, 0xffffffdc, v25, v34
	v_pack_b32_f16 v11, v11, v108
	v_fmac_f16_e32 v104, 0x38b4, v88
	v_add_f16_e32 v1, v1, v3
	v_fmac_f16_e32 v10, 0xb8b4, v89
	v_fmac_f16_e32 v105, 0x38b4, v107
	ds_load_b32 v0, v39
	ds_load_b32 v6, v41
	global_wb scope:SCOPE_SE
	s_wait_dscnt 0x0
	s_barrier_signal -1
	s_barrier_wait -1
	v_fmac_f16_e32 v8, 0xb8b4, v88
	global_inv scope:SCOPE_SE
	v_fmac_f16_e32 v104, 0x34f2, v2
	v_fmac_f16_e32 v10, 0x34f2, v1
	ds_store_2addr_b32 v7, v9, v11 offset1:10
	v_fmac_f16_e32 v105, 0x34f2, v5
	v_sub_f16_e32 v5, v79, v80
	v_sub_f16_e32 v9, v82, v81
	v_lshrrev_b32_e32 v31, 16, v86
	v_fmac_f16_e32 v8, 0x34f2, v2
	v_pack_b32_f16 v2, v104, v10
	v_fmac_f16_e32 v106, 0xbb9c, v89
	v_add_f16_e32 v5, v5, v9
	v_add_f16_e32 v9, v86, v83
	;; [unrolled: 1-line block ×3, first 2 shown]
	v_fmac_f16_e32 v27, 0x38b4, v89
	v_fmac_f16_e32 v106, 0xb8b4, v109
	v_sub_f16_e32 v3, v83, v84
	v_add_f16_e32 v9, v9, v84
	v_add_f16_e32 v10, v10, v80
	v_fmac_f16_e32 v27, 0x34f2, v1
	v_fmac_f16_e32 v106, 0x34f2, v4
	v_add_f16_e32 v4, v84, v85
	v_add_f16_e32 v9, v9, v85
	;; [unrolled: 1-line block ×3, first 2 shown]
	v_pack_b32_f16 v1, v8, v27
	v_sub_f16_e32 v8, v87, v85
	v_fma_f16 v88, -0.5, v4, v86
	v_add_f16_e32 v9, v9, v87
	v_add_f16_e32 v10, v10, v82
	v_sub_f16_e32 v4, v79, v82
	v_add_f16_e32 v3, v3, v8
	v_add_f16_e32 v8, v80, v81
	v_sub_f16_e32 v27, v80, v81
	v_pack_b32_f16 v9, v9, v10
	v_add_f16_e32 v10, v83, v87
	v_fmamk_f16 v11, v4, 0xbb9c, v88
	v_fmac_f16_e32 v88, 0x3b9c, v4
	v_fma_f16 v89, -0.5, v8, v31
	v_sub_f16_e32 v8, v83, v87
	v_fmac_f16_e32 v86, -0.5, v10
	v_lshlrev_b32_e32 v33, 2, v63
	v_fmac_f16_e32 v11, 0xb8b4, v27
	v_pack_b32_f16 v63, v105, v106
	ds_store_2addr_b32 v7, v1, v2 offset0:20 offset1:30
	v_sub_f16_e32 v1, v84, v83
	v_fmac_f16_e32 v88, 0x38b4, v27
	v_sub_f16_e32 v2, v85, v87
	v_fmamk_f16 v83, v27, 0x3b9c, v86
	v_fmac_f16_e32 v86, 0xbb9c, v27
	v_fmamk_f16 v104, v8, 0x3b9c, v89
	v_sub_f16_e32 v107, v84, v85
	v_fmac_f16_e32 v11, 0x34f2, v3
	ds_store_b32 v7, v63 offset:160
	v_add_f16_e32 v7, v79, v82
	v_fmac_f16_e32 v88, 0x34f2, v3
	v_add_f16_e32 v1, v1, v2
	v_fmac_f16_e32 v83, 0xb8b4, v4
	v_fmac_f16_e32 v89, 0xbb9c, v8
	;; [unrolled: 1-line block ×3, first 2 shown]
	v_sub_f16_e32 v2, v80, v79
	v_sub_f16_e32 v3, v81, v82
	v_fmac_f16_e32 v104, 0x38b4, v107
	v_fmac_f16_e32 v31, -0.5, v7
	v_fmac_f16_e32 v89, 0xb8b4, v107
	v_fmac_f16_e32 v83, 0x34f2, v1
	;; [unrolled: 1-line block ×3, first 2 shown]
	v_add_f16_e32 v2, v2, v3
	v_add_f16_e32 v1, v72, v77
	v_sub_f16_e32 v3, v75, v72
	v_sub_f16_e32 v4, v78, v77
	v_fmac_f16_e32 v104, 0x34f2, v5
	v_fmamk_f16 v79, v107, 0xbb9c, v31
	v_fmac_f16_e32 v31, 0x3b9c, v107
	v_fmac_f16_e32 v89, 0x34f2, v5
	v_fma_f16 v1, -0.5, v1, v6
	v_sub_f16_e32 v5, v71, v76
	v_add_f16_e32 v3, v3, v4
	v_add_f16_e32 v4, v75, v78
	;; [unrolled: 1-line block ×3, first 2 shown]
	v_add3_u32 v33, 0, v62, v33
	v_pack_b32_f16 v11, v11, v104
	v_fmac_f16_e32 v79, 0x38b4, v8
	v_fmac_f16_e32 v31, 0xb8b4, v8
	v_lshrrev_b32_e32 v80, 16, v6
	v_fmamk_f16 v81, v5, 0xbb9c, v1
	v_sub_f16_e32 v8, v73, v74
	v_fmac_f16_e32 v6, -0.5, v4
	v_fmac_f16_e32 v1, 0x3b9c, v5
	v_add_f16_e32 v7, v7, v72
	ds_store_2addr_b32 v33, v9, v11 offset1:10
	v_sub_f16_e32 v4, v72, v75
	v_sub_f16_e32 v9, v77, v78
	v_fmac_f16_e32 v81, 0xb8b4, v8
	v_fmamk_f16 v82, v8, 0x3b9c, v6
	v_fmac_f16_e32 v6, 0xbb9c, v8
	v_fmac_f16_e32 v1, 0x38b4, v8
	;; [unrolled: 1-line block ×4, first 2 shown]
	v_add_f16_e32 v2, v7, v77
	v_add_f16_e32 v4, v4, v9
	v_fmac_f16_e32 v82, 0xb8b4, v5
	v_fmac_f16_e32 v6, 0x38b4, v5
	;; [unrolled: 1-line block ×4, first 2 shown]
	v_add_f16_e32 v84, v2, v78
	v_add_f16_e32 v2, v80, v71
	;; [unrolled: 1-line block ×3, first 2 shown]
	v_fmac_f16_e32 v82, 0x34f2, v4
	v_fmac_f16_e32 v6, 0x34f2, v4
	v_sub_f16_e32 v4, v75, v78
	v_sub_f16_e32 v5, v71, v73
	;; [unrolled: 1-line block ×3, first 2 shown]
	v_add_f16_e32 v8, v2, v73
	v_fma_f16 v2, -0.5, v3, v80
	v_sub_f16_e32 v3, v72, v77
	v_add_f16_e32 v9, v71, v76
	v_add_f16_e32 v5, v5, v7
	;; [unrolled: 1-line block ×3, first 2 shown]
	v_fmamk_f16 v77, v4, 0x3b9c, v2
	v_fmac_f16_e32 v2, 0xbb9c, v4
	v_fmac_f16_e32 v80, -0.5, v9
	v_sub_f16_e32 v8, v73, v71
	v_add_f16_e32 v78, v7, v76
	v_fmac_f16_e32 v77, 0x38b4, v3
	v_fmac_f16_e32 v2, 0xb8b4, v3
	v_sub_f16_e32 v7, v74, v76
	v_fmamk_f16 v85, v3, 0xbb9c, v80
	v_fmac_f16_e32 v80, 0x3b9c, v3
	v_fmac_f16_e32 v77, 0x34f2, v5
	v_fmac_f16_e32 v2, 0x34f2, v5
	v_add_f16_e32 v3, v8, v7
	v_add_f16_e32 v5, v66, v69
	v_sub_f16_e32 v7, v68, v66
	v_sub_f16_e32 v8, v70, v69
	v_add_f16_e32 v9, v68, v70
	v_add_f16_e32 v11, v0, v68
	v_fmac_f16_e32 v85, 0x38b4, v4
	v_fmac_f16_e32 v80, 0xb8b4, v4
	v_fma_f16 v5, -0.5, v5, v0
	v_sub_f16_e32 v4, v32, v67
	v_add_f16_e32 v10, v7, v8
	v_lshrrev_b32_e32 v7, 16, v0
	v_sub_f16_e32 v27, v64, v65
	v_fmac_f16_e32 v0, -0.5, v9
	v_add_f16_e32 v11, v11, v66
	v_fmamk_f16 v8, v4, 0xbb9c, v5
	v_fmac_f16_e32 v5, 0x3b9c, v4
	v_sub_f16_e32 v62, v66, v68
	v_sub_f16_e32 v63, v69, v70
	v_fmamk_f16 v9, v27, 0x3b9c, v0
	v_fmac_f16_e32 v0, 0xbb9c, v27
	v_fmac_f16_e32 v85, 0x34f2, v3
	;; [unrolled: 1-line block ×3, first 2 shown]
	v_add_f16_e32 v3, v11, v69
	v_fmac_f16_e32 v8, 0xb8b4, v27
	v_fmac_f16_e32 v5, 0x38b4, v27
	v_add_f16_e32 v27, v62, v63
	v_fmac_f16_e32 v9, 0xb8b4, v4
	v_fmac_f16_e32 v0, 0x38b4, v4
	v_add_f16_e32 v11, v3, v70
	v_add_f16_e32 v3, v7, v32
	v_add_f16_e32 v4, v64, v65
	v_fmac_f16_e32 v8, 0x34f2, v10
	v_fmac_f16_e32 v5, 0x34f2, v10
	;; [unrolled: 1-line block ×4, first 2 shown]
	v_sub_f16_e32 v10, v68, v70
	v_sub_f16_e32 v62, v32, v64
	;; [unrolled: 1-line block ×3, first 2 shown]
	v_add_f16_e32 v3, v3, v64
	v_fma_f16 v27, -0.5, v4, v7
	v_sub_f16_e32 v4, v66, v69
	v_add_f16_e32 v66, v32, v67
	v_add_f16_e32 v63, v62, v63
	;; [unrolled: 1-line block ×3, first 2 shown]
	v_fmamk_f16 v62, v10, 0x3b9c, v27
	v_fmac_f16_e32 v27, 0xbb9c, v10
	v_fmac_f16_e32 v7, -0.5, v66
	v_sub_f16_e32 v66, v64, v32
	v_add_f16_e32 v64, v3, v67
	v_fmac_f16_e32 v62, 0x38b4, v4
	v_fmac_f16_e32 v27, 0xb8b4, v4
	v_sub_f16_e32 v3, v65, v67
	v_fmamk_f16 v32, v4, 0xbb9c, v7
	v_fmac_f16_e32 v7, 0x3b9c, v4
	v_fmac_f16_e32 v62, 0x34f2, v63
	;; [unrolled: 1-line block ×3, first 2 shown]
	v_add_f16_e32 v63, v66, v3
	v_add_f16_e32 v3, v98, v99
	v_sub_f16_e32 v4, v30, v98
	v_sub_f16_e32 v65, v103, v99
	v_add_f16_e32 v67, v30, v103
	v_add_f16_e32 v68, v28, v30
	v_fma_f16 v3, -0.5, v3, v28
	v_sub_f16_e32 v69, v101, v29
	v_add_f16_e32 v65, v4, v65
	v_lshrrev_b32_e32 v4, 16, v28
	v_fmac_f16_e32 v28, -0.5, v67
	v_fmac_f16_e32 v32, 0x38b4, v10
	v_fmac_f16_e32 v7, 0xb8b4, v10
	v_sub_f16_e32 v10, v100, v102
	v_add_f16_e32 v68, v68, v98
	v_fmamk_f16 v67, v69, 0x3b9c, v28
	v_fmac_f16_e32 v28, 0xbb9c, v69
	v_sub_f16_e32 v70, v98, v30
	v_fmamk_f16 v66, v10, 0xbb9c, v3
	v_fmac_f16_e32 v3, 0x3b9c, v10
	v_sub_f16_e32 v71, v99, v103
	v_fmac_f16_e32 v67, 0xb8b4, v10
	v_fmac_f16_e32 v28, 0x38b4, v10
	v_add_f16_e32 v10, v68, v99
	v_fmac_f16_e32 v66, 0xb8b4, v69
	v_fmac_f16_e32 v3, 0x38b4, v69
	v_add_f16_e32 v69, v70, v71
	;; [unrolled: 3-line block ×3, first 2 shown]
	v_add_f16_e32 v10, v4, v100
	v_add_f16_e32 v63, v101, v29
	v_fmac_f16_e32 v67, 0x34f2, v69
	v_fmac_f16_e32 v28, 0x34f2, v69
	v_sub_f16_e32 v30, v30, v103
	v_add_f16_e32 v69, v10, v101
	v_fma_f16 v10, -0.5, v63, v4
	v_fmac_f16_e32 v66, 0x34f2, v65
	v_fmac_f16_e32 v3, 0x34f2, v65
	v_sub_f16_e32 v65, v100, v101
	v_sub_f16_e32 v68, v102, v29
	;; [unrolled: 1-line block ×3, first 2 shown]
	v_add_f16_e32 v70, v100, v102
	v_fmamk_f16 v74, v30, 0x3b9c, v10
	v_fmac_f16_e32 v10, 0xbb9c, v30
	v_add_f16_e32 v65, v65, v68
	v_add_f16_e32 v68, v69, v29
	v_fmac_f16_e32 v4, -0.5, v70
	v_fmac_f16_e32 v74, 0x38b4, v63
	v_fmac_f16_e32 v10, 0xb8b4, v63
	v_sub_f16_e32 v69, v101, v100
	v_sub_f16_e32 v29, v29, v102
	v_fmamk_f16 v75, v63, 0xbb9c, v4
	v_fmac_f16_e32 v4, 0x3b9c, v63
	v_fmac_f16_e32 v74, 0x34f2, v65
	;; [unrolled: 1-line block ×3, first 2 shown]
	v_sub_f16_e32 v63, v92, v93
	v_sub_f16_e32 v65, v97, v94
	v_add_f16_e32 v76, v68, v102
	v_add_f16_e32 v68, v69, v29
	;; [unrolled: 1-line block ×3, first 2 shown]
	v_fmac_f16_e32 v75, 0x38b4, v30
	v_add_f16_e32 v69, v63, v65
	v_add_f16_e32 v63, v92, v97
	v_fmac_f16_e32 v4, 0xb8b4, v30
	v_fma_f16 v29, -0.5, v29, v26
	v_sub_f16_e32 v70, v95, v90
	v_lshrrev_b32_e32 v30, 16, v26
	v_add_f16_e32 v72, v26, v92
	v_fmac_f16_e32 v26, -0.5, v63
	v_sub_f16_e32 v73, v96, v91
	v_fmamk_f16 v63, v70, 0xbb9c, v29
	v_fmac_f16_e32 v29, 0x3b9c, v70
	v_sub_f16_e32 v87, v93, v92
	v_sub_f16_e32 v98, v94, v97
	v_fmamk_f16 v65, v73, 0x3b9c, v26
	v_fmac_f16_e32 v26, 0xbb9c, v73
	v_add_f16_e32 v72, v72, v93
	v_fmac_f16_e32 v63, 0xb8b4, v73
	v_fmac_f16_e32 v29, 0x38b4, v73
	v_add_f16_e32 v73, v87, v98
	v_fmac_f16_e32 v65, 0xb8b4, v70
	v_fmac_f16_e32 v26, 0x38b4, v70
	;; [unrolled: 1-line block ×4, first 2 shown]
	v_add_f16_e32 v68, v72, v94
	v_add_f16_e32 v70, v96, v91
	v_fmac_f16_e32 v63, 0x34f2, v69
	v_fmac_f16_e32 v29, 0x34f2, v69
	;; [unrolled: 1-line block ×4, first 2 shown]
	v_add_f16_e32 v69, v68, v97
	v_sub_f16_e32 v73, v92, v97
	v_fma_f16 v68, -0.5, v70, v30
	v_add_f16_e32 v92, v95, v90
	v_add_f16_e32 v97, v30, v95
	v_pack_b32_f16 v79, v83, v79
	v_pack_b32_f16 v31, v86, v31
	;; [unrolled: 1-line block ×3, first 2 shown]
	v_sub_f16_e32 v72, v95, v96
	v_sub_f16_e32 v87, v90, v91
	;; [unrolled: 1-line block ×3, first 2 shown]
	v_fmamk_f16 v70, v73, 0x3b9c, v68
	v_fmac_f16_e32 v30, -0.5, v92
	v_add_f16_e32 v92, v97, v96
	v_pack_b32_f16 v57, v84, v78
	v_pack_b32_f16 v77, v81, v77
	;; [unrolled: 1-line block ×4, first 2 shown]
	ds_store_2addr_b32 v33, v79, v31 offset0:20 offset1:30
	v_mul_u32_u24_e32 v31, 0xc8, v58
	ds_store_b32 v33, v83 offset:160
	ds_store_2addr_b32 v56, v57, v77 offset1:10
	ds_store_2addr_b32 v56, v78, v6 offset0:20 offset1:30
	v_pack_b32_f16 v6, v11, v64
	v_mul_u32_u24_e32 v11, 0xc8, v43
	v_add_f16_e32 v87, v72, v87
	v_sub_f16_e32 v94, v96, v95
	v_fmac_f16_e32 v70, 0x38b4, v93
	v_sub_f16_e32 v95, v91, v90
	v_fmamk_f16 v72, v93, 0xbb9c, v30
	v_fmac_f16_e32 v30, 0x3b9c, v93
	v_add_f16_e32 v91, v92, v91
	v_pack_b32_f16 v1, v1, v2
	v_add3_u32 v2, 0, v31, v59
	v_pack_b32_f16 v8, v8, v62
	v_pack_b32_f16 v9, v9, v32
	;; [unrolled: 1-line block ×4, first 2 shown]
	v_add3_u32 v11, 0, v11, v60
	v_pack_b32_f16 v7, v71, v76
	v_pack_b32_f16 v27, v66, v74
	v_fmac_f16_e32 v68, 0xbb9c, v73
	v_fmac_f16_e32 v72, 0x38b4, v73
	;; [unrolled: 1-line block ×3, first 2 shown]
	v_add_f16_e32 v73, v91, v90
	v_fmac_f16_e32 v70, 0x34f2, v87
	ds_store_b32 v56, v1 offset:160
	ds_store_2addr_b32 v2, v6, v8 offset1:10
	ds_store_2addr_b32 v2, v9, v0 offset0:20 offset1:30
	ds_store_b32 v2, v5 offset:160
	ds_store_2addr_b32 v11, v7, v27 offset1:10
	v_pack_b32_f16 v0, v67, v75
	v_lshrrev_b16 v1, 1, v17
	v_pack_b32_f16 v2, v28, v4
	v_mul_lo_u16 v4, v54, 41
	v_mul_u32_u24_e32 v5, 0xc8, v55
	v_pack_b32_f16 v3, v3, v10
	v_and_b32_e32 v1, 0xffff, v1
	ds_store_2addr_b32 v11, v0, v2 offset0:20 offset1:30
	v_lshrrev_b16 v7, 11, v4
	v_add3_u32 v0, 0, v5, v61
	v_pack_b32_f16 v2, v69, v73
	v_pack_b32_f16 v4, v63, v70
	v_fmac_f16_e32 v68, 0xb8b4, v93
	v_add_f16_e32 v92, v94, v95
	ds_store_b32 v11, v3 offset:160
	v_mul_u32_u24_e32 v1, 0x147b, v1
	ds_store_2addr_b32 v0, v2, v4 offset1:10
	v_lshrrev_b16 v2, 1, v25
	v_fmac_f16_e32 v68, 0x34f2, v87
	v_fmac_f16_e32 v72, 0x34f2, v92
	;; [unrolled: 1-line block ×3, first 2 shown]
	v_lshrrev_b32_e32 v5, 17, v1
	v_and_b32_e32 v4, 0xffff, v2
	v_mul_lo_u16 v3, v7, 50
	v_pack_b32_f16 v6, v65, v72
	v_pack_b32_f16 v1, v26, v30
	v_pack_b32_f16 v8, v29, v68
	v_mul_lo_u16 v9, v5, 50
	v_mul_u32_u24_e32 v2, 0x147b, v4
	v_sub_nc_u16 v3, v12, v3
	ds_store_2addr_b32 v0, v6, v1 offset0:20 offset1:30
	ds_store_b32 v0, v8 offset:160
	v_sub_nc_u16 v0, v17, v9
	v_lshrrev_b32_e32 v11, 17, v2
	v_and_b32_e32 v27, 0xff, v3
	v_lshrrev_b16 v3, 1, v24
	global_wb scope:SCOPE_SE
	s_wait_dscnt 0x0
	v_and_b32_e32 v33, 0xffff, v0
	v_mul_lo_u16 v0, v11, 50
	v_lshlrev_b32_e32 v1, 3, v27
	v_and_b32_e32 v6, 0xffff, v3
	v_lshrrev_b16 v3, 1, v23
	s_barrier_signal -1
	v_sub_nc_u16 v0, v25, v0
	s_barrier_wait -1
	v_mul_u32_u24_e32 v2, 0x147b, v6
	global_inv scope:SCOPE_SE
	global_load_b64 v[54:55], v1, s[4:5] offset:160
	v_and_b32_e32 v62, 0xffff, v0
	v_and_b32_e32 v8, 0xffff, v3
	v_lshrrev_b32_e32 v32, 17, v2
	v_lshrrev_b16 v3, 1, v21
	v_lshrrev_b16 v43, 1, v19
	v_lshlrev_b32_e32 v2, 3, v62
	v_and_b32_e32 v7, 0xffff, v7
	v_mul_lo_u16 v0, v32, 50
	v_and_b32_e32 v26, 0xffff, v3
	v_lshrrev_b16 v3, 1, v20
	global_load_b64 v[66:67], v2, s[4:5] offset:160
	v_lshlrev_b32_e32 v1, 3, v33
	v_sub_nc_u16 v0, v24, v0
	v_mul_u32_u24_e32 v29, 0x147b, v26
	v_and_b32_e32 v28, 0xffff, v3
	v_mul_u32_u24_e32 v7, 0x258, v7
	global_load_b64 v[64:65], v1, s[4:5] offset:160
	v_mul_u32_u24_e32 v1, 0x147b, v8
	v_and_b32_e32 v58, 0xffff, v0
	v_lshlrev_b32_e32 v27, 2, v27
	v_mul_u32_u24_e32 v5, 0x258, v5
	v_lshlrev_b32_e32 v33, 2, v33
	v_lshrrev_b32_e32 v9, 17, v1
	v_lshrrev_b16 v1, 1, v22
	v_add3_u32 v7, 0, v7, v27
	v_mul_u32_u24_e32 v11, 0x258, v11
	v_add3_u32 v5, 0, v5, v33
	v_mul_lo_u16 v0, v9, 50
	v_and_b32_e32 v10, 0xffff, v1
	v_lshlrev_b32_e32 v1, 3, v58
	v_lshlrev_b32_e32 v62, 2, v62
	v_mul_u32_u24_e32 v32, 0x258, v32
	v_sub_nc_u16 v0, v23, v0
	v_mul_u32_u24_e32 v2, 0x147b, v10
	global_load_b64 v[68:69], v1, s[4:5] offset:160
	v_add3_u32 v11, 0, v11, v62
	v_lshlrev_b32_e32 v58, 2, v58
	v_and_b32_e32 v31, 0xffff, v0
	v_mul_u32_u24_e32 v9, 0x258, v9
	v_mul_u32_u24_e32 v8, 0xda75, v8
	s_delay_alu instid0(VALU_DEP_4) | instskip(NEXT) | instid1(VALU_DEP_4)
	v_add3_u32 v32, 0, v32, v58
	v_lshlrev_b32_e32 v0, 3, v31
	v_lshlrev_b32_e32 v31, 2, v31
	global_load_b64 v[70:71], v0, s[4:5] offset:160
	v_lshrrev_b32_e32 v1, 17, v2
	v_add3_u32 v9, 0, v9, v31
	s_delay_alu instid0(VALU_DEP_2) | instskip(SKIP_1) | instid1(VALU_DEP_2)
	v_mul_lo_u16 v2, v1, 50
	v_mul_u32_u24_e32 v1, 0x258, v1
	v_sub_nc_u16 v0, v22, v2
	v_lshrrev_b32_e32 v2, 17, v29
	s_delay_alu instid0(VALU_DEP_2) | instskip(NEXT) | instid1(VALU_DEP_2)
	v_and_b32_e32 v3, 0xffff, v0
	v_mul_lo_u16 v29, v2, 50
	v_mul_u32_u24_e32 v0, 0x147b, v28
	v_mul_u32_u24_e32 v2, 0x258, v2
	;; [unrolled: 1-line block ×3, first 2 shown]
	v_lshlrev_b32_e32 v30, 3, v3
	v_sub_nc_u16 v29, v21, v29
	v_lshrrev_b32_e32 v0, 17, v0
	v_lshlrev_b32_e32 v3, 2, v3
	v_lshrrev_b32_e32 v28, 22, v28
	global_load_b64 v[72:73], v30, s[4:5] offset:160
	v_and_b32_e32 v63, 0xffff, v29
	v_and_b32_e32 v29, 0xffff, v43
	v_add3_u32 v1, 0, v1, v3
	s_delay_alu instid0(VALU_DEP_3) | instskip(NEXT) | instid1(VALU_DEP_3)
	v_lshlrev_b32_e32 v43, 3, v63
	v_mul_u32_u24_e32 v56, 0x147b, v29
	v_mul_u32_u24_e32 v29, 0xda75, v29
	global_load_b64 v[74:75], v43, s[4:5] offset:160
	v_lshrrev_b32_e32 v57, 17, v56
	v_lshrrev_b32_e32 v29, 22, v29
	s_delay_alu instid0(VALU_DEP_2) | instskip(NEXT) | instid1(VALU_DEP_1)
	v_mul_lo_u16 v56, v57, 50
	v_sub_nc_u16 v60, v19, v56
	s_delay_alu instid0(VALU_DEP_1) | instskip(NEXT) | instid1(VALU_DEP_1)
	v_and_b32_e32 v61, 0xffff, v60
	v_lshlrev_b32_e32 v60, 3, v61
	global_load_b64 v[78:79], v60, s[4:5] offset:160
	v_mul_lo_u16 v30, v0, 50
	v_mul_u32_u24_e32 v0, 0x258, v0
	s_delay_alu instid0(VALU_DEP_2) | instskip(NEXT) | instid1(VALU_DEP_1)
	v_sub_nc_u16 v30, v20, v30
	v_and_b32_e32 v59, 0xffff, v30
	v_lshrrev_b16 v30, 1, v16
	s_delay_alu instid0(VALU_DEP_2) | instskip(NEXT) | instid1(VALU_DEP_2)
	v_lshlrev_b32_e32 v43, 3, v59
	v_and_b32_e32 v30, 0xffff, v30
	global_load_b64 v[76:77], v43, s[4:5] offset:160
	v_mul_u32_u24_e32 v43, 0x147b, v30
	v_mul_u32_u24_e32 v30, 0xda75, v30
	s_delay_alu instid0(VALU_DEP_2) | instskip(NEXT) | instid1(VALU_DEP_2)
	v_lshrrev_b32_e32 v56, 17, v43
	v_lshrrev_b32_e32 v30, 22, v30
	s_delay_alu instid0(VALU_DEP_2) | instskip(NEXT) | instid1(VALU_DEP_2)
	v_mul_lo_u16 v43, v56, 50
	v_mul_lo_u16 v30, 0x96, v30
	s_delay_alu instid0(VALU_DEP_2) | instskip(NEXT) | instid1(VALU_DEP_2)
	v_sub_nc_u16 v43, v16, v43
	v_sub_nc_u16 v30, v16, v30
	s_delay_alu instid0(VALU_DEP_2) | instskip(NEXT) | instid1(VALU_DEP_2)
	v_and_b32_e32 v60, 0xffff, v43
	v_and_b32_e32 v30, 0xffff, v30
	s_delay_alu instid0(VALU_DEP_2)
	v_lshlrev_b32_e32 v43, 3, v60
	global_load_b64 v[80:81], v43, s[4:5] offset:160
	ds_load_2addr_b32 v[82:83], v49 offset0:70 offset1:205
	ds_load_2addr_b32 v[84:85], v48 offset0:12 offset1:147
	;; [unrolled: 1-line block ×4, first 2 shown]
	s_wait_dscnt 0x3
	v_lshrrev_b32_e32 v93, 16, v82
	s_wait_dscnt 0x2
	v_lshrrev_b32_e32 v95, 16, v84
	v_lshrrev_b32_e32 v90, 16, v83
	;; [unrolled: 1-line block ×3, first 2 shown]
	s_wait_loadcnt 0x9
	v_lshrrev_b32_e32 v43, 16, v54
	v_lshrrev_b32_e32 v91, 16, v55
	s_delay_alu instid0(VALU_DEP_2) | instskip(SKIP_1) | instid1(VALU_DEP_3)
	v_mul_f16_e32 v94, v43, v82
	v_mul_f16_e32 v98, v43, v93
	;; [unrolled: 1-line block ×4, first 2 shown]
	s_delay_alu instid0(VALU_DEP_4) | instskip(NEXT) | instid1(VALU_DEP_4)
	v_fma_f16 v93, v54, v93, -v94
	v_fmac_f16_e32 v98, v54, v82
	s_delay_alu instid0(VALU_DEP_4) | instskip(NEXT) | instid1(VALU_DEP_4)
	v_fma_f16 v94, v55, v95, -v96
	v_fmac_f16_e32 v91, v55, v84
	s_wait_dscnt 0x1
	v_lshrrev_b32_e32 v96, 16, v87
	s_wait_loadcnt 0x7
	v_lshrrev_b32_e32 v97, 16, v64
	v_lshrrev_b32_e32 v43, 16, v65
	v_add_f16_e32 v114, v93, v94
	s_delay_alu instid0(VALU_DEP_3) | instskip(SKIP_1) | instid1(VALU_DEP_4)
	v_mul_f16_e32 v54, v83, v97
	v_mul_f16_e32 v95, v90, v97
	;; [unrolled: 1-line block ×4, first 2 shown]
	s_delay_alu instid0(VALU_DEP_4)
	v_fma_f16 v84, v90, v64, -v54
	ds_load_2addr_b32 v[54:55], v47 offset0:98 offset1:233
	v_fmac_f16_e32 v95, v83, v64
	v_fmac_f16_e32 v82, v85, v65
	v_lshrrev_b32_e32 v83, 16, v66
	v_lshrrev_b32_e32 v64, 16, v86
	v_fma_f16 v85, v92, v65, -v43
	v_lshrrev_b32_e32 v43, 16, v67
	s_wait_dscnt 0x1
	v_lshrrev_b32_e32 v90, 16, v88
	v_mul_f16_e32 v65, v86, v83
	v_mul_f16_e32 v83, v64, v83
	s_wait_loadcnt 0x6
	v_lshrrev_b32_e32 v97, 16, v68
	v_mul_f16_e32 v92, v88, v43
	v_mul_f16_e32 v100, v90, v43
	v_fma_f16 v99, v64, v66, -v65
	ds_load_2addr_b32 v[64:65], v52 offset0:40 offset1:175
	v_fmac_f16_e32 v83, v86, v66
	v_fma_f16 v90, v90, v67, -v92
	v_mul_f16_e32 v92, v96, v97
	v_lshrrev_b32_e32 v43, 16, v89
	v_lshrrev_b32_e32 v66, 16, v69
	v_fmac_f16_e32 v100, v88, v67
	v_mul_f16_e32 v67, v87, v97
	s_wait_loadcnt 0x5
	v_lshrrev_b32_e32 v86, 16, v70
	v_fmac_f16_e32 v92, v87, v68
	v_mul_f16_e32 v87, v43, v66
	v_mul_f16_e32 v66, v89, v66
	s_wait_dscnt 0x1
	v_lshrrev_b32_e32 v88, 16, v54
	v_fma_f16 v96, v96, v68, -v67
	v_mul_f16_e32 v67, v54, v86
	v_fmac_f16_e32 v87, v89, v69
	v_fma_f16 v89, v43, v69, -v66
	v_mul_f16_e32 v86, v88, v86
	ds_load_2addr_b32 v[68:69], v45 offset0:54 offset1:189
	v_fma_f16 v88, v88, v70, -v67
	ds_load_2addr_b32 v[66:67], v46 offset0:112 offset1:247
	v_lshrrev_b32_e32 v43, 16, v71
	s_wait_dscnt 0x2
	v_lshrrev_b32_e32 v97, 16, v64
	v_lshrrev_b32_e32 v102, 16, v55
	;; [unrolled: 1-line block ×3, first 2 shown]
	v_fmac_f16_e32 v86, v54, v70
	v_mul_f16_e32 v101, v64, v43
	v_mul_f16_e32 v106, v97, v43
	s_delay_alu instid0(VALU_DEP_2) | instskip(SKIP_4) | instid1(VALU_DEP_3)
	v_fma_f16 v97, v97, v71, -v101
	s_wait_loadcnt 0x4
	v_lshrrev_b32_e32 v103, 16, v72
	v_lshrrev_b32_e32 v105, 16, v73
	v_fmac_f16_e32 v106, v64, v71
	v_mul_f16_e32 v101, v102, v103
	s_delay_alu instid0(VALU_DEP_3)
	v_mul_f16_e32 v107, v104, v105
	v_mul_f16_e32 v43, v55, v103
	;; [unrolled: 1-line block ×3, first 2 shown]
	s_wait_dscnt 0x0
	v_lshrrev_b32_e32 v64, 16, v66
	v_fmac_f16_e32 v101, v55, v72
	v_fmac_f16_e32 v107, v65, v73
	v_fma_f16 v72, v102, v72, -v43
	s_wait_loadcnt 0x3
	v_lshrrev_b32_e32 v43, 16, v74
	v_lshrrev_b32_e32 v55, 16, v75
	;; [unrolled: 1-line block ×3, first 2 shown]
	v_fma_f16 v73, v104, v73, -v54
	v_lshrrev_b32_e32 v71, 16, v67
	v_mul_f16_e32 v70, v66, v43
	v_mul_f16_e32 v102, v64, v43
	;; [unrolled: 1-line block ×4, first 2 shown]
	ds_load_2addr_b32 v[54:55], v51 offset0:62 offset1:197
	v_fma_f16 v105, v64, v74, -v70
	v_fmac_f16_e32 v102, v66, v74
	v_fma_f16 v108, v65, v75, -v43
	ds_load_2addr_b32 v[64:65], v18 offset0:68 offset1:203
	v_lshrrev_b32_e32 v43, 16, v69
	v_fmac_f16_e32 v103, v68, v75
	s_wait_loadcnt 0x2
	v_lshrrev_b32_e32 v68, 16, v78
	s_wait_dscnt 0x1
	s_delay_alu instid0(VALU_DEP_1) | instskip(SKIP_3) | instid1(VALU_DEP_2)
	v_mul_f16_e32 v70, v54, v68
	s_wait_loadcnt 0x1
	v_lshrrev_b32_e32 v104, 16, v76
	v_lshrrev_b32_e32 v66, 16, v77
	v_mul_f16_e32 v74, v71, v104
	s_delay_alu instid0(VALU_DEP_2) | instskip(SKIP_1) | instid1(VALU_DEP_3)
	v_mul_f16_e32 v75, v43, v66
	v_mul_f16_e32 v66, v69, v66
	v_fmac_f16_e32 v74, v67, v76
	v_mul_f16_e32 v67, v67, v104
	s_delay_alu instid0(VALU_DEP_4)
	v_fmac_f16_e32 v75, v69, v77
	v_lshrrev_b32_e32 v69, 16, v54
	v_fma_f16 v77, v43, v77, -v66
	s_wait_dscnt 0x0
	v_lshrrev_b32_e32 v43, 16, v64
	v_fma_f16 v76, v71, v76, -v67
	v_lshrrev_b32_e32 v67, 16, v79
	v_mul_f16_e32 v71, v69, v68
	v_fma_f16 v104, v69, v78, -v70
	v_lshrrev_b32_e32 v68, 16, v55
	s_delay_alu instid0(VALU_DEP_4) | instskip(NEXT) | instid1(VALU_DEP_4)
	v_mul_f16_e32 v66, v64, v67
	v_fmac_f16_e32 v71, v54, v78
	ds_load_b32 v78, v44
	v_mul_f16_e32 v109, v43, v67
	v_fma_f16 v110, v43, v79, -v66
	s_delay_alu instid0(VALU_DEP_2) | instskip(SKIP_4) | instid1(VALU_DEP_3)
	v_fmac_f16_e32 v109, v64, v79
	s_wait_loadcnt 0x0
	v_lshrrev_b32_e32 v70, 16, v80
	v_lshrrev_b32_e32 v64, 16, v65
	;; [unrolled: 1-line block ×3, first 2 shown]
	v_mul_f16_e32 v69, v68, v70
	v_mul_f16_e32 v54, v55, v70
	s_delay_alu instid0(VALU_DEP_3)
	v_mul_f16_e32 v70, v64, v43
	v_mul_f16_e32 v66, v65, v43
	v_lshl_add_u32 v43, v16, 2, 0
	v_fmac_f16_e32 v69, v55, v80
	v_fma_f16 v79, v68, v80, -v54
	v_fmac_f16_e32 v70, v65, v81
	v_fma_f16 v80, v64, v81, -v66
	v_add_f16_e32 v81, v98, v91
	s_wait_dscnt 0x0
	v_lshrrev_b32_e32 v112, 16, v78
	v_add_f16_e32 v113, v78, v98
	v_lshl_add_u32 v55, v20, 2, 0
	v_lshl_add_u32 v54, v19, 2, 0
	v_fmac_f16_e32 v78, -0.5, v81
	v_add_f16_e32 v81, v112, v93
	v_sub_f16_e32 v93, v93, v94
	v_fmac_f16_e32 v112, -0.5, v114
	ds_load_b32 v68, v36
	ds_load_b32 v66, v55
	;; [unrolled: 1-line block ×6, first 2 shown]
	v_add_f16_e32 v81, v81, v94
	v_add_f16_e32 v94, v113, v91
	v_sub_f16_e32 v91, v98, v91
	s_delay_alu instid0(VALU_DEP_2) | instskip(SKIP_1) | instid1(VALU_DEP_3)
	v_pack_b32_f16 v27, v94, v81
	v_fmamk_f16 v81, v93, 0xbaee, v78
	v_fmamk_f16 v94, v91, 0x3aee, v112
	v_fmac_f16_e32 v78, 0x3aee, v93
	v_fmac_f16_e32 v112, 0xbaee, v91
	v_add_f16_e32 v93, v84, v85
	s_delay_alu instid0(VALU_DEP_4)
	v_pack_b32_f16 v81, v81, v94
	ds_load_b32 v94, v40
	ds_load_b32 v98, v37
	;; [unrolled: 1-line block ×3, first 2 shown]
	global_wb scope:SCOPE_SE
	s_wait_dscnt 0x0
	s_barrier_signal -1
	s_barrier_wait -1
	global_inv scope:SCOPE_SE
	ds_store_2addr_b32 v7, v27, v81 offset1:50
	v_pack_b32_f16 v27, v78, v112
	v_add_f16_e32 v78, v95, v82
	ds_store_b32 v7, v27 offset:400
	v_add_f16_e32 v7, v83, v100
	v_lshrrev_b32_e32 v81, 16, v94
	v_add_f16_e32 v91, v94, v95
	v_fmac_f16_e32 v94, -0.5, v78
	v_lshrrev_b32_e32 v27, 16, v113
	s_delay_alu instid0(VALU_DEP_4) | instskip(SKIP_2) | instid1(VALU_DEP_3)
	v_add_f16_e32 v78, v81, v84
	v_sub_f16_e32 v84, v84, v85
	v_fmac_f16_e32 v81, -0.5, v93
	v_add_f16_e32 v78, v78, v85
	v_sub_f16_e32 v85, v95, v82
	v_add_f16_e32 v82, v91, v82
	v_fmamk_f16 v91, v84, 0xbaee, v94
	v_fmac_f16_e32 v94, 0x3aee, v84
	s_delay_alu instid0(VALU_DEP_4)
	v_fmamk_f16 v84, v85, 0x3aee, v81
	v_fmac_f16_e32 v81, 0xbaee, v85
	v_pack_b32_f16 v33, v82, v78
	v_sub_f16_e32 v82, v96, v89
	v_add_f16_e32 v85, v98, v86
	v_pack_b32_f16 v78, v91, v84
	v_pack_b32_f16 v81, v94, v81
	v_add_f16_e32 v84, v88, v97
	s_delay_alu instid0(VALU_DEP_4)
	v_add_f16_e32 v85, v85, v106
	ds_store_2addr_b32 v5, v33, v78 offset1:50
	ds_store_b32 v5, v81 offset:400
	v_add_f16_e32 v5, v113, v83
	v_fmac_f16_e32 v113, -0.5, v7
	v_add_f16_e32 v7, v99, v90
	v_add_f16_e32 v33, v27, v99
	v_sub_f16_e32 v78, v99, v90
	v_add_f16_e32 v5, v5, v100
	s_delay_alu instid0(VALU_DEP_4)
	v_fmac_f16_e32 v27, -0.5, v7
	v_sub_f16_e32 v7, v83, v100
	v_add_f16_e32 v33, v33, v90
	v_fmamk_f16 v62, v78, 0xbaee, v113
	v_fmac_f16_e32 v113, 0x3aee, v78
	v_lshrrev_b32_e32 v78, 16, v111
	v_fmamk_f16 v81, v7, 0x3aee, v27
	v_fmac_f16_e32 v27, 0xbaee, v7
	v_pack_b32_f16 v5, v5, v33
	v_add_f16_e32 v7, v92, v87
	s_delay_alu instid0(VALU_DEP_4) | instskip(SKIP_2) | instid1(VALU_DEP_4)
	v_pack_b32_f16 v33, v62, v81
	v_add_f16_e32 v62, v78, v96
	v_add_f16_e32 v81, v111, v92
	v_fmac_f16_e32 v111, -0.5, v7
	v_add_f16_e32 v7, v96, v89
	v_pack_b32_f16 v27, v113, v27
	v_add_f16_e32 v62, v62, v89
	v_add_f16_e32 v81, v81, v87
	s_delay_alu instid0(VALU_DEP_4) | instskip(SKIP_1) | instid1(VALU_DEP_3)
	v_fmac_f16_e32 v78, -0.5, v7
	v_sub_f16_e32 v7, v92, v87
	v_pack_b32_f16 v58, v81, v62
	v_fmamk_f16 v62, v82, 0xbaee, v111
	v_lshrrev_b32_e32 v81, 16, v98
	v_fmac_f16_e32 v111, 0x3aee, v82
	v_add_f16_e32 v82, v86, v106
	v_fmamk_f16 v83, v7, 0x3aee, v78
	v_fmac_f16_e32 v78, 0xbaee, v7
	v_add_f16_e32 v7, v81, v88
	v_fmac_f16_e32 v81, -0.5, v84
	v_fmac_f16_e32 v98, -0.5, v82
	v_sub_f16_e32 v82, v88, v97
	v_sub_f16_e32 v84, v86, v106
	v_add_f16_e32 v7, v7, v97
	v_pack_b32_f16 v62, v62, v83
	v_pack_b32_f16 v78, v111, v78
	v_fmamk_f16 v86, v82, 0xbaee, v98
	v_fmamk_f16 v87, v84, 0x3aee, v81
	v_pack_b32_f16 v7, v85, v7
	v_fmac_f16_e32 v98, 0x3aee, v82
	v_add_f16_e32 v82, v76, v77
	v_add_f16_e32 v83, v66, v74
	v_pack_b32_f16 v31, v86, v87
	ds_store_2addr_b32 v11, v5, v33 offset1:50
	ds_store_b32 v11, v27 offset:400
	ds_store_2addr_b32 v32, v58, v62 offset1:50
	ds_store_b32 v32, v78 offset:400
	ds_store_2addr_b32 v9, v7, v31 offset1:50
	v_add_f16_e32 v5, v101, v107
	v_lshrrev_b32_e32 v7, 16, v68
	v_add_f16_e32 v11, v72, v73
	v_add_f16_e32 v27, v68, v101
	;; [unrolled: 1-line block ×3, first 2 shown]
	v_fmac_f16_e32 v68, -0.5, v5
	v_sub_f16_e32 v5, v72, v73
	v_add_f16_e32 v31, v7, v72
	v_fmac_f16_e32 v7, -0.5, v11
	v_sub_f16_e32 v11, v101, v107
	v_add_f16_e32 v58, v105, v108
	v_fmamk_f16 v32, v5, 0xbaee, v68
	v_fmac_f16_e32 v68, 0x3aee, v5
	v_add_f16_e32 v5, v31, v73
	v_fmamk_f16 v31, v11, 0x3aee, v7
	v_fmac_f16_e32 v7, 0xbaee, v11
	v_lshrrev_b32_e32 v11, 16, v67
	v_add_f16_e32 v62, v67, v102
	v_fmac_f16_e32 v67, -0.5, v33
	v_sub_f16_e32 v33, v105, v108
	v_add_f16_e32 v78, v74, v75
	v_add_f16_e32 v72, v11, v105
	v_fmac_f16_e32 v11, -0.5, v58
	v_sub_f16_e32 v58, v102, v103
	v_fmamk_f16 v73, v33, 0xbaee, v67
	v_fmac_f16_e32 v67, 0x3aee, v33
	v_add_f16_e32 v33, v72, v108
	v_sub_f16_e32 v74, v74, v75
	v_fmamk_f16 v72, v58, 0x3aee, v11
	v_fmac_f16_e32 v11, 0xbaee, v58
	v_lshrrev_b32_e32 v58, 16, v66
	v_fmac_f16_e32 v66, -0.5, v78
	v_sub_f16_e32 v78, v76, v77
	v_fmac_f16_e32 v81, 0xbaee, v84
	v_add_f16_e32 v75, v83, v75
	v_add_f16_e32 v76, v58, v76
	v_fmac_f16_e32 v58, -0.5, v82
	v_fmamk_f16 v82, v78, 0xbaee, v66
	v_fmac_f16_e32 v66, 0x3aee, v78
	v_add_f16_e32 v78, v71, v109
	v_add_f16_e32 v76, v76, v77
	v_fmamk_f16 v77, v74, 0x3aee, v58
	v_lshrrev_b32_e32 v83, 16, v65
	v_fmac_f16_e32 v58, 0xbaee, v74
	v_add_f16_e32 v74, v104, v110
	v_add_f16_e32 v84, v65, v71
	v_fmac_f16_e32 v65, -0.5, v78
	v_sub_f16_e32 v85, v104, v110
	v_add_f16_e32 v78, v83, v104
	v_fmac_f16_e32 v83, -0.5, v74
	v_add_f16_e32 v74, v84, v109
	v_add_f16_e32 v84, v69, v70
	v_fmamk_f16 v86, v85, 0xbaee, v65
	v_fmac_f16_e32 v65, 0x3aee, v85
	v_lshrrev_b32_e32 v85, 16, v64
	v_add_f16_e32 v87, v64, v69
	v_fmac_f16_e32 v64, -0.5, v84
	v_sub_f16_e32 v84, v79, v80
	v_add_f16_e32 v27, v27, v107
	v_add_f16_e32 v89, v85, v79
	;; [unrolled: 1-line block ×3, first 2 shown]
	v_sub_f16_e32 v69, v69, v70
	v_add_f16_e32 v62, v62, v103
	v_pack_b32_f16 v3, v27, v5
	v_pack_b32_f16 v5, v32, v31
	v_fmac_f16_e32 v85, -0.5, v79
	v_add_f16_e32 v79, v87, v70
	v_pack_b32_f16 v70, v98, v81
	v_lshlrev_b32_e32 v31, 2, v63
	ds_store_b32 v9, v70 offset:400
	ds_store_2addr_b32 v1, v3, v5 offset1:50
	v_pack_b32_f16 v3, v68, v7
	v_sub_f16_e32 v71, v71, v109
	v_add3_u32 v2, 0, v2, v31
	v_pack_b32_f16 v5, v62, v33
	v_pack_b32_f16 v7, v73, v72
	;; [unrolled: 1-line block ×3, first 2 shown]
	ds_store_b32 v1, v3 offset:400
	v_lshlrev_b32_e32 v1, 2, v59
	v_add_f16_e32 v78, v78, v110
	v_fmamk_f16 v88, v71, 0x3aee, v83
	ds_store_2addr_b32 v2, v5, v7 offset1:50
	ds_store_b32 v2, v9 offset:400
	v_mul_u32_u24_e32 v2, 0x258, v57
	v_lshlrev_b32_e32 v3, 2, v61
	v_fmac_f16_e32 v83, 0xbaee, v71
	v_add3_u32 v0, 0, v0, v1
	v_pack_b32_f16 v1, v75, v76
	v_pack_b32_f16 v5, v82, v77
	v_fmamk_f16 v71, v84, 0xbaee, v64
	v_add_f16_e32 v80, v89, v80
	v_fmamk_f16 v27, v69, 0x3aee, v85
	v_pack_b32_f16 v7, v66, v58
	v_mul_u32_u24_e32 v11, 0x258, v56
	v_lshlrev_b32_e32 v31, 2, v60
	v_fmac_f16_e32 v64, 0x3aee, v84
	v_fmac_f16_e32 v85, 0xbaee, v69
	v_add3_u32 v2, 0, v2, v3
	v_pack_b32_f16 v3, v74, v78
	v_pack_b32_f16 v9, v86, v88
	ds_store_2addr_b32 v0, v1, v5 offset1:50
	ds_store_b32 v0, v7 offset:400
	ds_store_2addr_b32 v2, v3, v9 offset1:50
	v_pack_b32_f16 v3, v65, v83
	v_add3_u32 v5, 0, v11, v31
	v_pack_b32_f16 v7, v79, v80
	v_pack_b32_f16 v9, v71, v27
	;; [unrolled: 1-line block ×3, first 2 shown]
	ds_store_b32 v2, v3 offset:400
	ds_store_2addr_b32 v5, v7, v9 offset1:50
	ds_store_b32 v5, v11 offset:400
	v_add_nc_u32_e32 v5, -15, v12
	v_mul_u32_u24_e32 v7, 0xda75, v4
	v_dual_mov_b32 v1, 0 :: v_dual_lshlrev_b32 v0, 1, v12
	v_mul_u32_u24_e32 v9, 0xda75, v6
	s_wait_alu 0xf1ff
	v_cndmask_b32_e64 v67, v5, v17, s0
	v_lshrrev_b32_e32 v65, 22, v7
	v_mov_b32_e32 v32, v1
	v_lshlrev_b64_e32 v[2:3], 2, v[0:1]
	v_lshrrev_b32_e32 v63, 22, v9
	v_lshlrev_b32_e32 v31, 1, v67
	v_mul_lo_u16 v7, 0x96, v65
	global_wb scope:SCOPE_SE
	s_wait_dscnt 0x0
	s_barrier_signal -1
	v_add_co_u32 v2, s0, s4, v2
	v_lshlrev_b64_e32 v[31:32], 2, v[31:32]
	v_sub_nc_u16 v11, v25, v7
	s_wait_alu 0xf1ff
	v_add_co_ci_u32_e64 v3, s0, s5, v3, s0
	s_barrier_wait -1
	global_inv scope:SCOPE_SE
	v_add_co_u32 v31, s0, s4, v31
	s_wait_alu 0xf1ff
	v_add_co_ci_u32_e64 v32, s0, s5, v32, s0
	v_and_b32_e32 v69, 0xffff, v11
	global_load_b64 v[4:5], v[2:3], off offset:560
	v_mul_lo_u16 v9, 0x96, v63
	global_load_b64 v[6:7], v[31:32], off offset:560
	v_lshrrev_b32_e32 v31, 22, v8
	v_lshlrev_b32_e32 v11, 3, v69
	v_mul_u32_u24_e32 v33, 0xda75, v10
	v_sub_nc_u16 v27, v24, v9
	v_mul_lo_u16 v60, 0x96, v28
	v_cmp_lt_u32_e64 s0, 14, v12
	global_load_b64 v[8:9], v11, s[4:5] offset:560
	v_mul_lo_u16 v11, 0x96, v31
	v_lshrrev_b32_e32 v58, 22, v33
	v_and_b32_e32 v68, 0xffff, v27
	v_mul_u32_u24_e32 v33, 0xda75, v26
	v_lshlrev_b32_e32 v67, 2, v67
	v_sub_nc_u16 v32, v23, v11
	v_mul_u32_u24_e32 v65, 0x708, v65
	v_lshlrev_b32_e32 v27, 3, v68
	v_lshlrev_b32_e32 v69, 2, v69
	v_mul_u32_u24_e32 v63, 0x708, v63
	v_and_b32_e32 v57, 0xffff, v32
	v_mul_lo_u16 v32, 0x96, v58
	global_load_b64 v[10:11], v27, s[4:5] offset:560
	v_add3_u32 v65, 0, v65, v69
	v_lshlrev_b32_e32 v68, 2, v68
	v_mul_u32_u24_e32 v31, 0x708, v31
	v_sub_nc_u16 v56, v22, v32
	v_lshrrev_b32_e32 v32, 22, v33
	s_delay_alu instid0(VALU_DEP_4) | instskip(NEXT) | instid1(VALU_DEP_3)
	v_add3_u32 v63, 0, v63, v68
	v_and_b32_e32 v59, 0xffff, v56
	s_delay_alu instid0(VALU_DEP_3) | instskip(NEXT) | instid1(VALU_DEP_2)
	v_mul_lo_u16 v33, 0x96, v32
	v_lshlrev_b32_e32 v56, 3, v59
	s_delay_alu instid0(VALU_DEP_2)
	v_sub_nc_u16 v33, v21, v33
	global_load_b64 v[70:71], v56, s[4:5] offset:560
	v_lshlrev_b32_e32 v27, 3, v57
	v_and_b32_e32 v56, 0xffff, v33
	v_sub_nc_u16 v33, v20, v60
	v_lshlrev_b32_e32 v57, 2, v57
	global_load_b64 v[26:27], v27, s[4:5] offset:560
	v_lshlrev_b32_e32 v60, 3, v56
	v_and_b32_e32 v33, 0xffff, v33
	global_load_b64 v[72:73], v60, s[4:5] offset:560
	v_lshlrev_b32_e32 v60, 3, v33
	global_load_b64 v[74:75], v60, s[4:5] offset:560
	v_mul_lo_u16 v60, 0x96, v29
	s_delay_alu instid0(VALU_DEP_1) | instskip(NEXT) | instid1(VALU_DEP_1)
	v_sub_nc_u16 v60, v19, v60
	v_and_b32_e32 v60, 0xffff, v60
	s_delay_alu instid0(VALU_DEP_1)
	v_lshlrev_b32_e32 v61, 3, v60
	global_load_b64 v[76:77], v61, s[4:5] offset:560
	v_lshlrev_b32_e32 v61, 3, v30
	global_load_b64 v[78:79], v61, s[4:5] offset:560
	ds_load_2addr_b32 v[80:81], v48 offset0:12 offset1:147
	ds_load_2addr_b32 v[82:83], v53 offset0:84 offset1:219
	;; [unrolled: 1-line block ×3, first 2 shown]
	ds_load_u16 v88, v44 offset:5942
	ds_load_2addr_b32 v[86:87], v50 offset0:26 offset1:161
	ds_load_b32 v66, v36
	ds_load_b32 v62, v55
	;; [unrolled: 1-line block ×3, first 2 shown]
	s_wait_dscnt 0x7
	v_lshrrev_b32_e32 v94, 16, v80
	v_lshrrev_b32_e32 v89, 16, v81
	s_wait_dscnt 0x5
	v_lshrrev_b32_e32 v92, 16, v84
	v_lshrrev_b32_e32 v90, 16, v82
	;; [unrolled: 1-line block ×3, first 2 shown]
	s_wait_dscnt 0x3
	v_lshrrev_b32_e32 v99, 16, v87
	s_wait_loadcnt 0x9
	v_lshrrev_b32_e32 v64, 16, v4
	v_lshrrev_b32_e32 v91, 16, v5
	s_wait_loadcnt 0x8
	v_lshrrev_b32_e32 v96, 16, v6
	s_delay_alu instid0(VALU_DEP_3) | instskip(SKIP_1) | instid1(VALU_DEP_3)
	v_mul_f16_e32 v93, v64, v84
	v_mul_f16_e32 v95, v64, v92
	;; [unrolled: 1-line block ×3, first 2 shown]
	ds_load_b32 v64, v38
	v_fma_f16 v92, v4, v92, -v93
	v_mul_f16_e32 v93, v91, v80
	v_mul_f16_e32 v91, v91, v94
	v_fmac_f16_e32 v95, v4, v84
	v_lshrrev_b32_e32 v4, 16, v7
	v_fmac_f16_e32 v97, v6, v85
	v_fma_f16 v84, v5, v94, -v93
	v_fmac_f16_e32 v91, v5, v80
	v_mul_f16_e32 v5, v96, v85
	v_mul_f16_e32 v85, v89, v4
	;; [unrolled: 1-line block ×3, first 2 shown]
	ds_load_b32 v93, v39
	ds_load_b32 v94, v44
	s_wait_loadcnt 0x7
	v_lshrrev_b32_e32 v96, 16, v8
	v_fma_f16 v88, v88, v6, -v5
	v_fmac_f16_e32 v85, v81, v7
	v_fma_f16 v81, v89, v7, -v4
	ds_load_2addr_b32 v[4:5], v47 offset0:98 offset1:233
	v_mul_f16_e32 v6, v82, v96
	v_lshrrev_b32_e32 v80, 16, v86
	v_lshrrev_b32_e32 v89, 16, v9
	v_mul_f16_e32 v96, v90, v96
	s_wait_loadcnt 0x6
	v_lshrrev_b32_e32 v100, 16, v10
	v_fma_f16 v90, v90, v8, -v6
	ds_load_2addr_b32 v[6:7], v52 offset0:40 offset1:175
	v_mul_f16_e32 v101, v86, v89
	v_mul_f16_e32 v89, v80, v89
	v_lshrrev_b32_e32 v102, 16, v11
	v_mul_f16_e32 v103, v98, v100
	v_fmac_f16_e32 v96, v82, v8
	v_fma_f16 v80, v80, v9, -v101
	v_fmac_f16_e32 v89, v86, v9
	v_mul_f16_e32 v82, v99, v102
	v_fmac_f16_e32 v103, v83, v10
	v_mul_f16_e32 v9, v83, v100
	v_mul_f16_e32 v83, v87, v102
	s_wait_loadcnt 0x5
	v_lshrrev_b32_e32 v104, 16, v70
	s_wait_dscnt 0x1
	v_lshrrev_b32_e32 v86, 16, v4
	s_wait_loadcnt 0x4
	v_lshrrev_b32_e32 v8, 16, v26
	v_fmac_f16_e32 v82, v87, v11
	v_fma_f16 v98, v98, v10, -v9
	v_fma_f16 v83, v99, v11, -v83
	ds_load_2addr_b32 v[10:11], v45 offset0:54 offset1:189
	v_mul_f16_e32 v87, v4, v8
	v_mul_f16_e32 v100, v86, v8
	ds_load_2addr_b32 v[8:9], v46 offset0:112 offset1:247
	v_lshrrev_b32_e32 v99, 16, v27
	v_lshrrev_b32_e32 v102, 16, v5
	v_fma_f16 v86, v86, v26, -v87
	s_wait_dscnt 0x2
	v_lshrrev_b32_e32 v87, 16, v6
	v_lshrrev_b32_e32 v105, 16, v7
	v_mul_f16_e32 v101, v6, v99
	v_lshrrev_b32_e32 v106, 16, v71
	v_fmac_f16_e32 v100, v4, v26
	v_mul_f16_e32 v99, v87, v99
	v_mul_f16_e32 v26, v102, v104
	v_fma_f16 v87, v87, v27, -v101
	v_mul_f16_e32 v101, v105, v106
	v_mul_f16_e32 v4, v5, v104
	v_fmac_f16_e32 v99, v6, v27
	v_mul_f16_e32 v6, v7, v106
	v_fmac_f16_e32 v26, v5, v70
	s_wait_loadcnt 0x3
	v_lshrrev_b32_e32 v5, 16, v72
	v_fmac_f16_e32 v101, v7, v71
	v_fma_f16 v27, v102, v70, -v4
	v_fma_f16 v70, v105, v71, -v6
	s_wait_dscnt 0x0
	v_lshrrev_b32_e32 v4, 16, v8
	v_lshrrev_b32_e32 v6, 16, v73
	v_mul_f16_e32 v7, v8, v5
	v_lshrrev_b32_e32 v71, 16, v10
	v_lshrrev_b32_e32 v102, 16, v9
	s_wait_loadcnt 0x2
	v_lshrrev_b32_e32 v104, 16, v74
	v_mul_f16_e32 v105, v10, v6
	v_mul_f16_e32 v106, v4, v5
	;; [unrolled: 1-line block ×3, first 2 shown]
	v_fma_f16 v108, v4, v72, -v7
	v_mul_f16_e32 v109, v102, v104
	ds_load_2addr_b32 v[4:5], v51 offset0:62 offset1:197
	ds_load_2addr_b32 v[6:7], v18 offset0:68 offset1:203
	v_fmac_f16_e32 v106, v8, v72
	v_fmac_f16_e32 v107, v10, v73
	;; [unrolled: 1-line block ×3, first 2 shown]
	v_mul_f16_e32 v8, v9, v104
	v_lshrrev_b32_e32 v9, 16, v11
	v_lshrrev_b32_e32 v10, 16, v75
	v_fma_f16 v71, v71, v73, -v105
	s_wait_loadcnt 0x1
	v_lshrrev_b32_e32 v73, 16, v77
	v_fma_f16 v8, v102, v74, -v8
	v_mul_f16_e32 v72, v9, v10
	v_mul_f16_e32 v10, v11, v10
	s_delay_alu instid0(VALU_DEP_2) | instskip(SKIP_1) | instid1(VALU_DEP_3)
	v_fmac_f16_e32 v72, v11, v75
	v_lshrrev_b32_e32 v11, 16, v76
	v_fma_f16 v9, v9, v75, -v10
	s_wait_dscnt 0x1
	v_lshrrev_b32_e32 v10, 16, v4
	s_wait_dscnt 0x0
	v_lshrrev_b32_e32 v75, 16, v6
	v_mul_f16_e32 v102, v6, v73
	v_mul_f16_e32 v74, v4, v11
	;; [unrolled: 1-line block ×3, first 2 shown]
	s_delay_alu instid0(VALU_DEP_4) | instskip(NEXT) | instid1(VALU_DEP_3)
	v_mul_f16_e32 v73, v75, v73
	v_fma_f16 v10, v10, v76, -v74
	v_fma_f16 v74, v75, v77, -v102
	v_lshrrev_b32_e32 v75, 16, v5
	s_wait_loadcnt 0x0
	v_lshrrev_b32_e32 v102, 16, v78
	v_fmac_f16_e32 v11, v4, v76
	v_fmac_f16_e32 v73, v6, v77
	v_lshrrev_b32_e32 v6, 16, v7
	v_lshrrev_b32_e32 v76, 16, v79
	v_mul_f16_e32 v4, v75, v102
	s_delay_alu instid0(VALU_DEP_2) | instskip(NEXT) | instid1(VALU_DEP_2)
	v_mul_f16_e32 v77, v6, v76
	v_fmac_f16_e32 v4, v5, v78
	v_mul_f16_e32 v5, v5, v102
	v_mul_f16_e32 v76, v7, v76
	s_delay_alu instid0(VALU_DEP_4) | instskip(SKIP_1) | instid1(VALU_DEP_4)
	v_fmac_f16_e32 v77, v7, v79
	v_add_f16_e32 v7, v95, v91
	v_fma_f16 v5, v75, v78, -v5
	v_lshrrev_b32_e32 v75, 16, v94
	v_fma_f16 v6, v6, v79, -v76
	v_add_f16_e32 v78, v92, v84
	ds_load_b32 v79, v40
	v_add_f16_e32 v76, v94, v95
	v_fmac_f16_e32 v94, -0.5, v7
	v_add_f16_e32 v7, v75, v92
	v_sub_f16_e32 v92, v92, v84
	v_fmac_f16_e32 v75, -0.5, v78
	v_sub_f16_e32 v78, v95, v91
	ds_load_b32 v95, v37
	v_add_f16_e32 v7, v7, v84
	v_add_f16_e32 v76, v76, v91
	v_fmamk_f16 v84, v92, 0xbaee, v94
	v_fmamk_f16 v91, v78, 0x3aee, v75
	v_fmac_f16_e32 v75, 0xbaee, v78
	v_fmac_f16_e32 v94, 0x3aee, v92
	v_pack_b32_f16 v7, v76, v7
	s_delay_alu instid0(VALU_DEP_4)
	v_pack_b32_f16 v76, v84, v91
	ds_load_b32 v84, v41
	ds_load_b32 v91, v43
	global_wb scope:SCOPE_SE
	s_wait_dscnt 0x0
	s_barrier_signal -1
	s_barrier_wait -1
	global_inv scope:SCOPE_SE
	v_lshrrev_b32_e32 v102, 16, v79
	ds_store_2addr_b32 v44, v7, v76 offset1:150
	v_add_f16_e32 v7, v97, v85
	v_add_f16_e32 v78, v79, v97
	v_pack_b32_f16 v75, v94, v75
	v_add_f16_e32 v76, v102, v88
	s_delay_alu instid0(VALU_DEP_4) | instskip(SKIP_2) | instid1(VALU_DEP_4)
	v_fmac_f16_e32 v79, -0.5, v7
	v_add_f16_e32 v7, v88, v81
	v_sub_f16_e32 v88, v88, v81
	v_add_f16_e32 v76, v76, v81
	s_wait_alu 0xf1ff
	v_cndmask_b32_e64 v81, 0, 0x708, s0
	v_add_f16_e32 v78, v78, v85
	v_fmac_f16_e32 v102, -0.5, v7
	v_sub_f16_e32 v7, v97, v85
	ds_store_b32 v44, v75 offset:1200
	v_add3_u32 v67, 0, v81, v67
	v_fmamk_f16 v81, v88, 0xbaee, v79
	v_pack_b32_f16 v76, v78, v76
	v_fmamk_f16 v85, v7, 0x3aee, v102
	v_lshrrev_b32_e32 v78, 16, v84
	v_fmac_f16_e32 v102, 0xbaee, v7
	v_fmac_f16_e32 v79, 0x3aee, v88
	s_delay_alu instid0(VALU_DEP_4) | instskip(SKIP_4) | instid1(VALU_DEP_4)
	v_pack_b32_f16 v7, v81, v85
	v_add_f16_e32 v81, v96, v89
	v_add_f16_e32 v75, v78, v90
	v_add_f16_e32 v85, v84, v96
	v_pack_b32_f16 v79, v79, v102
	v_fmac_f16_e32 v84, -0.5, v81
	v_add_f16_e32 v81, v90, v80
	v_add_f16_e32 v75, v75, v80
	;; [unrolled: 1-line block ×3, first 2 shown]
	v_sub_f16_e32 v80, v90, v80
	v_add_f16_e32 v90, v93, v103
	v_fmac_f16_e32 v78, -0.5, v81
	v_sub_f16_e32 v81, v96, v89
	v_pack_b32_f16 v69, v85, v75
	v_lshrrev_b32_e32 v85, 16, v93
	v_fmamk_f16 v75, v80, 0xbaee, v84
	v_fmac_f16_e32 v84, 0x3aee, v80
	v_fmamk_f16 v88, v81, 0x3aee, v78
	v_add_f16_e32 v80, v103, v82
	v_fmac_f16_e32 v78, 0xbaee, v81
	v_add_f16_e32 v81, v85, v98
	v_add_f16_e32 v89, v98, v83
	v_pack_b32_f16 v75, v75, v88
	v_fmac_f16_e32 v93, -0.5, v80
	v_sub_f16_e32 v80, v98, v83
	v_add_f16_e32 v81, v81, v83
	v_fmac_f16_e32 v85, -0.5, v89
	v_sub_f16_e32 v83, v103, v82
	v_add_f16_e32 v82, v90, v82
	v_fmamk_f16 v89, v80, 0xbaee, v93
	v_pack_b32_f16 v78, v84, v78
	v_fmac_f16_e32 v93, 0x3aee, v80
	v_fmamk_f16 v90, v83, 0x3aee, v85
	v_pack_b32_f16 v68, v82, v81
	v_fmac_f16_e32 v85, 0xbaee, v83
	v_add_f16_e32 v80, v64, v106
	v_add_f16_e32 v83, v8, v9
	v_pack_b32_f16 v81, v89, v90
	ds_store_2addr_b32 v67, v76, v7 offset1:150
	ds_store_b32 v67, v79 offset:1200
	ds_store_2addr_b32 v65, v69, v75 offset1:150
	ds_store_b32 v65, v78 offset:1200
	ds_store_2addr_b32 v63, v68, v81 offset1:150
	v_add_f16_e32 v7, v100, v99
	v_lshrrev_b32_e32 v65, 16, v95
	v_add_f16_e32 v67, v86, v87
	v_add_f16_e32 v68, v95, v100
	v_sub_f16_e32 v69, v86, v87
	v_fmac_f16_e32 v95, -0.5, v7
	v_add_f16_e32 v7, v65, v86
	v_fmac_f16_e32 v65, -0.5, v67
	v_add_f16_e32 v67, v68, v99
	v_pack_b32_f16 v68, v93, v85
	v_sub_f16_e32 v75, v100, v99
	v_fmamk_f16 v76, v69, 0xbaee, v95
	v_fmac_f16_e32 v95, 0x3aee, v69
	v_lshrrev_b32_e32 v69, 16, v66
	ds_store_b32 v63, v68 offset:1200
	v_add_f16_e32 v63, v26, v101
	v_fmamk_f16 v68, v75, 0x3aee, v65
	v_fmac_f16_e32 v65, 0xbaee, v75
	v_add_f16_e32 v75, v27, v70
	v_add_f16_e32 v78, v66, v26
	v_fmac_f16_e32 v66, -0.5, v63
	v_sub_f16_e32 v63, v27, v70
	v_add_f16_e32 v27, v69, v27
	v_fmac_f16_e32 v69, -0.5, v75
	v_sub_f16_e32 v26, v26, v101
	v_add_f16_e32 v75, v78, v101
	v_fmamk_f16 v78, v63, 0xbaee, v66
	v_fmac_f16_e32 v66, 0x3aee, v63
	v_add_f16_e32 v27, v27, v70
	v_fmamk_f16 v63, v26, 0x3aee, v69
	v_add_f16_e32 v70, v106, v107
	v_fmac_f16_e32 v69, 0xbaee, v26
	v_lshrrev_b32_e32 v26, 16, v64
	v_add_f16_e32 v79, v108, v71
	v_add_f16_e32 v84, v62, v109
	v_fmac_f16_e32 v64, -0.5, v70
	v_sub_f16_e32 v70, v108, v71
	v_add_f16_e32 v81, v26, v108
	v_fmac_f16_e32 v26, -0.5, v79
	v_sub_f16_e32 v79, v106, v107
	v_add_f16_e32 v85, v10, v74
	v_fmamk_f16 v82, v70, 0xbaee, v64
	v_fmac_f16_e32 v64, 0x3aee, v70
	v_add_f16_e32 v70, v81, v71
	v_add_f16_e32 v81, v109, v72
	v_fmamk_f16 v71, v79, 0x3aee, v26
	v_fmac_f16_e32 v26, 0xbaee, v79
	v_lshrrev_b32_e32 v79, 16, v62
	v_add_f16_e32 v86, v61, v11
	v_fmac_f16_e32 v62, -0.5, v81
	v_sub_f16_e32 v81, v8, v9
	v_add_f16_e32 v7, v7, v87
	v_add_f16_e32 v8, v79, v8
	v_fmac_f16_e32 v79, -0.5, v83
	v_sub_f16_e32 v83, v109, v72
	v_add_f16_e32 v72, v84, v72
	v_fmamk_f16 v84, v81, 0xbaee, v62
	v_fmac_f16_e32 v62, 0x3aee, v81
	v_add_f16_e32 v81, v11, v73
	v_add_f16_e32 v8, v8, v9
	v_fmamk_f16 v9, v83, 0x3aee, v79
	v_fmac_f16_e32 v79, 0xbaee, v83
	v_lshrrev_b32_e32 v83, 16, v61
	v_fmac_f16_e32 v61, -0.5, v81
	v_sub_f16_e32 v81, v10, v74
	v_sub_f16_e32 v11, v11, v73
	v_add_f16_e32 v73, v86, v73
	v_add_f16_e32 v10, v83, v10
	v_fmac_f16_e32 v83, -0.5, v85
	v_fmamk_f16 v85, v81, 0xbaee, v61
	v_fmac_f16_e32 v61, 0x3aee, v81
	v_add_f16_e32 v81, v4, v77
	v_lshrrev_b32_e32 v86, 16, v91
	v_add_f16_e32 v87, v5, v6
	v_add_f16_e32 v10, v10, v74
	v_fmamk_f16 v74, v11, 0x3aee, v83
	v_fmac_f16_e32 v83, 0xbaee, v11
	v_add_f16_e32 v11, v91, v4
	v_fmac_f16_e32 v91, -0.5, v81
	v_add_f16_e32 v81, v86, v5
	v_sub_f16_e32 v5, v5, v6
	v_fmac_f16_e32 v86, -0.5, v87
	v_sub_f16_e32 v4, v4, v77
	v_add_f16_e32 v11, v11, v77
	v_pack_b32_f16 v7, v67, v7
	v_fmamk_f16 v77, v5, 0xbaee, v91
	v_fmac_f16_e32 v91, 0x3aee, v5
	v_add_f16_e32 v5, v81, v6
	v_add3_u32 v6, 0, v31, v57
	v_pack_b32_f16 v31, v76, v68
	v_mul_u32_u24_e32 v57, 0x708, v58
	v_lshlrev_b32_e32 v58, 2, v59
	v_fmamk_f16 v59, v4, 0x3aee, v86
	v_fmac_f16_e32 v86, 0xbaee, v4
	v_pack_b32_f16 v4, v95, v65
	ds_store_2addr_b32 v6, v7, v31 offset1:150
	v_add3_u32 v7, 0, v57, v58
	v_pack_b32_f16 v27, v75, v27
	v_pack_b32_f16 v31, v78, v63
	;; [unrolled: 1-line block ×3, first 2 shown]
	v_add_f16_e32 v80, v80, v107
	ds_store_b32 v6, v4 offset:1200
	v_mul_u32_u24_e32 v4, 0x708, v32
	v_lshlrev_b32_e32 v6, 2, v56
	ds_store_2addr_b32 v7, v27, v31 offset1:150
	ds_store_b32 v7, v57 offset:1200
	v_mul_u32_u24_e32 v7, 0x708, v28
	v_lshlrev_b32_e32 v27, 2, v33
	v_pack_b32_f16 v28, v82, v71
	v_add3_u32 v4, 0, v4, v6
	v_pack_b32_f16 v6, v80, v70
	v_pack_b32_f16 v26, v64, v26
	v_add3_u32 v7, 0, v7, v27
	v_pack_b32_f16 v8, v72, v8
	v_pack_b32_f16 v9, v84, v9
	v_mul_u32_u24_e32 v27, 0x708, v29
	v_lshlrev_b32_e32 v29, 2, v60
	ds_store_2addr_b32 v4, v6, v28 offset1:150
	ds_store_b32 v4, v26 offset:1200
	ds_store_2addr_b32 v7, v8, v9 offset1:150
	v_lshl_add_u32 v9, v30, 2, 0
	v_pack_b32_f16 v4, v62, v79
	v_pack_b32_f16 v8, v73, v10
	v_add3_u32 v6, 0, v27, v29
	v_pack_b32_f16 v10, v85, v74
	v_pack_b32_f16 v26, v61, v83
	;; [unrolled: 1-line block ×4, first 2 shown]
	v_add_nc_u32_e32 v27, 0x3800, v9
	v_pack_b32_f16 v28, v91, v86
	ds_store_b32 v7, v4 offset:1200
	ds_store_2addr_b32 v6, v8, v10 offset1:150
	ds_store_b32 v6, v26 offset:1200
	ds_store_2addr_b32 v27, v5, v11 offset0:16 offset1:166
	ds_store_b32 v9, v28 offset:15600
	v_dual_mov_b32 v5, v1 :: v_dual_lshlrev_b32 v4, 1, v17
	v_subrev_nc_u32_e32 v26, 45, v12
	v_dual_mov_b32 v7, v1 :: v_dual_lshlrev_b32 v6, 1, v25
	global_wb scope:SCOPE_SE
	s_wait_dscnt 0x0
	v_lshlrev_b64_e32 v[4:5], 2, v[4:5]
	s_barrier_signal -1
	s_barrier_wait -1
	global_inv scope:SCOPE_SE
	global_load_b64 v[8:9], v[2:3], off offset:1760
	v_lshlrev_b64_e32 v[6:7], 2, v[6:7]
	v_add_co_u32 v4, s0, s4, v4
	s_wait_alu 0xf1ff
	v_add_co_ci_u32_e64 v5, s0, s5, v5, s0
	v_cmp_gt_u32_e64 s0, 45, v12
	v_dual_mov_b32 v27, v1 :: v_dual_and_b32 v32, 0xffff, v21
	global_load_b64 v[10:11], v[4:5], off offset:1760
	v_add_nc_u32_e32 v30, 0xb4, v0
	s_wait_alu 0xf1ff
	v_cndmask_b32_e64 v57, v26, v24, s0
	v_add_co_u32 v6, s0, s4, v6
	s_wait_alu 0xf1ff
	v_add_co_ci_u32_e64 v7, s0, s5, v7, s0
	s_delay_alu instid0(VALU_DEP_3) | instskip(SKIP_3) | instid1(VALU_DEP_4)
	v_lshlrev_b32_e32 v26, 1, v57
	v_mul_u32_u24_e32 v32, 0x91a3, v32
	v_add_nc_u32_e32 v0, 0x1c2, v0
	v_dual_mov_b32 v31, v1 :: v_dual_and_b32 v58, 0xffff, v20
	v_lshlrev_b64_e32 v[28:29], 2, v[26:27]
	global_load_b64 v[26:27], v[6:7], off offset:1760
	v_lshrrev_b32_e32 v56, 24, v32
	v_lshlrev_b64_e32 v[32:33], 2, v[0:1]
	v_mul_u32_u24_e32 v58, 0x91a3, v58
	v_lshlrev_b64_e32 v[30:31], 2, v[30:31]
	v_add_co_u32 v28, s0, s4, v28
	s_wait_alu 0xf1ff
	v_add_co_ci_u32_e64 v29, s0, s5, v29, s0
	v_mul_lo_u16 v0, 0x1c2, v56
	v_lshrrev_b32_e32 v58, 24, v58
	v_add_co_u32 v30, s0, s4, v30
	global_load_b64 v[28:29], v[28:29], off offset:1760
	v_sub_nc_u16 v0, v21, v0
	s_wait_alu 0xf1ff
	v_add_co_ci_u32_e64 v31, s0, s5, v31, s0
	v_add_co_u32 v32, s0, s4, v32
	s_delay_alu instid0(VALU_DEP_3)
	v_and_b32_e32 v64, 0xffff, v0
	v_mul_lo_u16 v0, 0x1c2, v58
	global_load_b64 v[30:31], v[30:31], off offset:1760
	s_wait_alu 0xf1ff
	v_add_co_ci_u32_e64 v33, s0, s5, v33, s0
	v_and_b32_e32 v59, 0xffff, v19
	v_sub_nc_u16 v0, v20, v0
	v_cmp_lt_u32_e64 s0, 44, v12
	global_load_b64 v[32:33], v[32:33], off offset:1760
	v_lshlrev_b32_e32 v57, 2, v57
	v_mul_u32_u24_e32 v58, 0x91a3, v59
	v_and_b32_e32 v0, 0xffff, v0
	v_lshlrev_b32_e32 v59, 3, v64
	v_mul_u32_u24_e32 v56, 0x1518, v56
	v_lshlrev_b32_e32 v64, 2, v64
	v_lshrrev_b32_e32 v58, 24, v58
	v_lshlrev_b32_e32 v60, 3, v0
	global_load_b64 v[66:67], v59, s[4:5] offset:1760
	v_lshl_add_u32 v0, v0, 2, 0
	v_add3_u32 v56, 0, v56, v64
	v_mul_lo_u16 v58, 0x1c2, v58
	global_load_b64 v[68:69], v60, s[4:5] offset:1760
	v_and_b32_e32 v59, 0xffff, v16
	v_sub_nc_u16 v58, v19, v58
	s_delay_alu instid0(VALU_DEP_2) | instskip(NEXT) | instid1(VALU_DEP_2)
	v_mul_u32_u24_e32 v59, 0x91a3, v59
	v_and_b32_e32 v58, 0xffff, v58
	s_delay_alu instid0(VALU_DEP_2) | instskip(NEXT) | instid1(VALU_DEP_2)
	v_lshrrev_b32_e32 v59, 24, v59
	v_lshlrev_b32_e32 v60, 3, v58
	s_delay_alu instid0(VALU_DEP_2) | instskip(SKIP_2) | instid1(VALU_DEP_1)
	v_mul_lo_u16 v59, 0x1c2, v59
	global_load_b64 v[70:71], v60, s[4:5] offset:1760
	v_sub_nc_u16 v59, v16, v59
	v_and_b32_e32 v59, 0xffff, v59
	s_delay_alu instid0(VALU_DEP_1)
	v_lshlrev_b32_e32 v60, 3, v59
	global_load_b64 v[72:73], v60, s[4:5] offset:1760
	ds_load_2addr_b32 v[74:75], v49 offset0:70 offset1:205
	ds_load_2addr_b32 v[76:77], v48 offset0:12 offset1:147
	ds_load_u16 v82, v44 offset:5942
	ds_load_2addr_b32 v[78:79], v53 offset0:84 offset1:219
	ds_load_2addr_b32 v[80:81], v50 offset0:26 offset1:161
	ds_load_b32 v62, v36
	ds_load_b32 v61, v55
	;; [unrolled: 1-line block ×3, first 2 shown]
	s_wait_dscnt 0x7
	v_lshrrev_b32_e32 v83, 16, v74
	s_wait_dscnt 0x6
	v_lshrrev_b32_e32 v85, 16, v76
	v_lshrrev_b32_e32 v89, 16, v77
	s_wait_loadcnt 0x9
	v_lshrrev_b32_e32 v63, 16, v8
	v_lshrrev_b32_e32 v65, 16, v9
	s_delay_alu instid0(VALU_DEP_2) | instskip(SKIP_1) | instid1(VALU_DEP_3)
	v_mul_f16_e32 v84, v63, v74
	v_mul_f16_e32 v86, v63, v83
	;; [unrolled: 1-line block ×3, first 2 shown]
	ds_load_b32 v63, v38
	s_wait_loadcnt 0x8
	v_lshrrev_b32_e32 v88, 16, v10
	v_fma_f16 v83, v8, v83, -v84
	v_mul_f16_e32 v84, v65, v85
	v_lshrrev_b32_e32 v90, 16, v11
	v_fmac_f16_e32 v86, v8, v74
	s_wait_dscnt 0x6
	v_mul_f16_e32 v93, v82, v88
	v_mul_f16_e32 v8, v88, v75
	v_fmac_f16_e32 v84, v9, v76
	v_mul_f16_e32 v74, v89, v90
	v_fma_f16 v76, v9, v85, -v87
	v_fmac_f16_e32 v93, v10, v75
	v_mul_f16_e32 v9, v77, v90
	ds_load_b32 v65, v37
	ds_load_b32 v91, v39
	;; [unrolled: 1-line block ×3, first 2 shown]
	s_wait_loadcnt 0x7
	v_lshrrev_b32_e32 v75, 16, v26
	v_fmac_f16_e32 v74, v77, v11
	s_wait_dscnt 0x8
	v_lshrrev_b32_e32 v77, 16, v78
	s_wait_dscnt 0x7
	v_lshrrev_b32_e32 v85, 16, v80
	v_fma_f16 v82, v82, v10, -v8
	v_fma_f16 v87, v89, v11, -v9
	v_mul_f16_e32 v10, v78, v75
	v_lshrrev_b32_e32 v11, 16, v27
	ds_load_2addr_b32 v[8:9], v47 offset0:98 offset1:233
	v_lshrrev_b32_e32 v88, 16, v79
	v_mul_f16_e32 v75, v77, v75
	v_fma_f16 v77, v77, v26, -v10
	v_mul_f16_e32 v90, v85, v11
	s_wait_loadcnt 0x6
	v_lshrrev_b32_e32 v89, 16, v28
	v_mul_f16_e32 v94, v80, v11
	ds_load_2addr_b32 v[10:11], v52 offset0:40 offset1:175
	v_fmac_f16_e32 v75, v78, v26
	v_lshrrev_b32_e32 v26, 16, v81
	v_mul_f16_e32 v78, v88, v89
	v_lshrrev_b32_e32 v95, 16, v29
	v_fmac_f16_e32 v90, v80, v27
	v_fma_f16 v80, v85, v27, -v94
	v_mul_f16_e32 v27, v79, v89
	v_fmac_f16_e32 v78, v79, v28
	v_mul_f16_e32 v79, v26, v95
	v_mul_f16_e32 v85, v81, v95
	s_wait_loadcnt 0x5
	v_lshrrev_b32_e32 v89, 16, v30
	v_fma_f16 v88, v88, v28, -v27
	s_wait_dscnt 0x1
	v_lshrrev_b32_e32 v28, 16, v8
	v_fmac_f16_e32 v79, v81, v29
	v_fma_f16 v81, v26, v29, -v85
	v_mul_f16_e32 v29, v8, v89
	ds_load_2addr_b32 v[26:27], v46 offset0:112 offset1:247
	v_lshrrev_b32_e32 v85, 16, v31
	v_mul_f16_e32 v89, v28, v89
	s_wait_dscnt 0x1
	v_lshrrev_b32_e32 v94, 16, v10
	v_fma_f16 v95, v28, v30, -v29
	v_lshrrev_b32_e32 v97, 16, v9
	s_wait_loadcnt 0x4
	v_lshrrev_b32_e32 v98, 16, v32
	ds_load_2addr_b32 v[28:29], v45 offset0:54 offset1:189
	v_mul_f16_e32 v96, v10, v85
	v_mul_f16_e32 v85, v94, v85
	v_lshrrev_b32_e32 v99, 16, v11
	v_lshrrev_b32_e32 v100, 16, v33
	v_mul_f16_e32 v101, v97, v98
	v_fmac_f16_e32 v89, v8, v30
	v_fmac_f16_e32 v85, v10, v31
	v_mul_f16_e32 v8, v9, v98
	v_mul_f16_e32 v30, v99, v100
	v_fmac_f16_e32 v101, v9, v32
	v_mul_f16_e32 v9, v11, v100
	s_wait_loadcnt 0x3
	v_lshrrev_b32_e32 v10, 16, v66
	v_fma_f16 v94, v94, v31, -v96
	v_fmac_f16_e32 v30, v11, v33
	s_wait_dscnt 0x1
	v_lshrrev_b32_e32 v11, 16, v26
	v_fma_f16 v31, v97, v32, -v8
	v_fma_f16 v32, v99, v33, -v9
	v_mul_f16_e32 v33, v26, v10
	ds_load_2addr_b32 v[8:9], v51 offset0:62 offset1:197
	v_lshrrev_b32_e32 v96, 16, v67
	v_mul_f16_e32 v97, v11, v10
	s_wait_dscnt 0x1
	v_lshrrev_b32_e32 v98, 16, v28
	v_fma_f16 v33, v11, v66, -v33
	v_lshrrev_b32_e32 v100, 16, v27
	s_wait_loadcnt 0x2
	v_lshrrev_b32_e32 v102, 16, v68
	ds_load_2addr_b32 v[10:11], v18 offset0:68 offset1:203
	v_mul_f16_e32 v99, v28, v96
	v_mul_f16_e32 v96, v98, v96
	v_lshrrev_b32_e32 v103, 16, v29
	v_lshrrev_b32_e32 v104, 16, v69
	v_mul_f16_e32 v105, v100, v102
	v_fmac_f16_e32 v97, v26, v66
	v_fmac_f16_e32 v96, v28, v67
	s_wait_loadcnt 0x1
	v_lshrrev_b32_e32 v28, 16, v70
	v_mul_f16_e32 v26, v103, v104
	v_fmac_f16_e32 v105, v27, v68
	v_mul_f16_e32 v27, v27, v102
	v_fma_f16 v98, v98, v67, -v99
	v_mul_f16_e32 v66, v29, v104
	v_fmac_f16_e32 v26, v29, v69
	s_wait_dscnt 0x1
	v_lshrrev_b32_e32 v29, 16, v8
	v_mul_f16_e32 v67, v8, v28
	v_fma_f16 v27, v100, v68, -v27
	v_lshrrev_b32_e32 v68, 16, v71
	v_fma_f16 v66, v103, v69, -v66
	v_mul_f16_e32 v28, v29, v28
	v_fma_f16 v29, v29, v70, -v67
	s_wait_dscnt 0x0
	v_lshrrev_b32_e32 v67, 16, v10
	v_mul_f16_e32 v69, v10, v68
	v_lshrrev_b32_e32 v99, 16, v9
	s_wait_loadcnt 0x0
	v_lshrrev_b32_e32 v100, 16, v72
	v_lshrrev_b32_e32 v102, 16, v11
	;; [unrolled: 1-line block ×3, first 2 shown]
	v_mul_f16_e32 v68, v67, v68
	v_fma_f16 v67, v67, v71, -v69
	v_mul_f16_e32 v69, v99, v100
	v_fmac_f16_e32 v28, v8, v70
	v_mul_f16_e32 v70, v102, v103
	v_mul_f16_e32 v8, v9, v100
	v_fmac_f16_e32 v68, v10, v71
	v_fmac_f16_e32 v69, v9, v72
	v_mul_f16_e32 v9, v11, v103
	v_fmac_f16_e32 v70, v11, v73
	v_fma_f16 v10, v99, v72, -v8
	ds_load_b32 v11, v40
	v_add_f16_e32 v8, v86, v84
	v_lshrrev_b32_e32 v71, 16, v92
	v_fma_f16 v9, v102, v73, -v9
	v_add_f16_e32 v72, v83, v76
	v_add_f16_e32 v73, v92, v86
	v_fmac_f16_e32 v92, -0.5, v8
	v_sub_f16_e32 v8, v83, v76
	v_add_f16_e32 v83, v71, v83
	v_fmac_f16_e32 v71, -0.5, v72
	v_add_f16_e32 v72, v73, v84
	v_sub_f16_e32 v73, v86, v84
	v_fmamk_f16 v84, v8, 0xbaee, v92
	v_add_f16_e32 v76, v83, v76
	ds_load_b32 v83, v41
	v_fmac_f16_e32 v92, 0x3aee, v8
	ds_load_b32 v8, v43
	v_fmamk_f16 v86, v73, 0x3aee, v71
	v_fmac_f16_e32 v71, 0xbaee, v73
	v_add_f16_e32 v73, v93, v74
	s_wait_dscnt 0x2
	v_lshrrev_b32_e32 v99, 16, v11
	v_add_f16_e32 v100, v82, v87
	v_add_f16_e32 v102, v11, v93
	v_sub_f16_e32 v93, v93, v74
	v_fmac_f16_e32 v11, -0.5, v73
	v_sub_f16_e32 v73, v82, v87
	v_add_f16_e32 v82, v99, v82
	v_fmac_f16_e32 v99, -0.5, v100
	v_add_f16_e32 v74, v102, v74
	v_add_f16_e32 v102, v77, v80
	v_fmamk_f16 v100, v73, 0xbaee, v11
	v_fmac_f16_e32 v11, 0x3aee, v73
	v_add_f16_e32 v73, v82, v87
	v_fmamk_f16 v82, v93, 0x3aee, v99
	v_add_f16_e32 v87, v75, v90
	v_fmac_f16_e32 v99, 0xbaee, v93
	s_wait_dscnt 0x1
	v_lshrrev_b32_e32 v93, 16, v83
	v_add_f16_e32 v103, v83, v75
	v_sub_f16_e32 v75, v75, v90
	v_fmac_f16_e32 v83, -0.5, v87
	v_sub_f16_e32 v87, v77, v80
	v_add_f16_e32 v77, v93, v77
	v_fmac_f16_e32 v93, -0.5, v102
	v_add_f16_e32 v90, v103, v90
	v_add_f16_e32 v103, v88, v81
	v_fmamk_f16 v102, v87, 0xbaee, v83
	v_fmac_f16_e32 v83, 0x3aee, v87
	v_add_f16_e32 v77, v77, v80
	v_fmamk_f16 v80, v75, 0x3aee, v93
	v_add_f16_e32 v87, v78, v79
	v_fmac_f16_e32 v93, 0xbaee, v75
	v_lshrrev_b32_e32 v75, 16, v91
	v_add_f16_e32 v104, v91, v78
	v_sub_f16_e32 v78, v78, v79
	v_fmac_f16_e32 v91, -0.5, v87
	v_sub_f16_e32 v87, v88, v81
	v_add_f16_e32 v88, v75, v88
	v_fmac_f16_e32 v75, -0.5, v103
	v_pack_b32_f16 v72, v72, v76
	v_pack_b32_f16 v76, v84, v86
	;; [unrolled: 1-line block ×6, first 2 shown]
	v_add_f16_e32 v79, v104, v79
	v_fmamk_f16 v103, v87, 0xbaee, v91
	v_fmac_f16_e32 v91, 0x3aee, v87
	v_add_f16_e32 v81, v88, v81
	v_fmamk_f16 v87, v78, 0x3aee, v75
	v_add_f16_e32 v88, v89, v85
	v_fmac_f16_e32 v75, 0xbaee, v78
	v_lshrrev_b32_e32 v78, 16, v65
	v_add_f16_e32 v104, v95, v94
	v_add_f16_e32 v106, v65, v89
	global_wb scope:SCOPE_SE
	s_wait_dscnt 0x0
	s_barrier_signal -1
	s_barrier_wait -1
	global_inv scope:SCOPE_SE
	ds_store_b32 v44, v72
	ds_store_b32 v44, v76 offset:1800
	ds_store_b32 v44, v71 offset:3600
	s_wait_alu 0xf1ff
	v_cndmask_b32_e64 v71, 0, 0x1518, s0
	ds_store_b32 v40, v73
	ds_store_b32 v40, v74 offset:1800
	ds_store_b32 v40, v11 offset:3600
	v_pack_b32_f16 v11, v90, v77
	v_pack_b32_f16 v72, v102, v80
	;; [unrolled: 1-line block ×3, first 2 shown]
	v_fmac_f16_e32 v65, -0.5, v88
	v_sub_f16_e32 v88, v95, v94
	v_add_f16_e32 v95, v78, v95
	v_fmac_f16_e32 v78, -0.5, v104
	v_add_f16_e32 v104, v106, v85
	v_sub_f16_e32 v85, v89, v85
	v_add3_u32 v57, 0, v71, v57
	v_pack_b32_f16 v71, v79, v81
	v_pack_b32_f16 v74, v103, v87
	;; [unrolled: 1-line block ×3, first 2 shown]
	ds_store_b32 v41, v11
	ds_store_b32 v41, v72 offset:1800
	ds_store_b32 v41, v73 offset:3600
	ds_store_b32 v57, v71
	ds_store_b32 v57, v74 offset:1800
	ds_store_b32 v57, v75 offset:3600
	v_add_f16_e32 v11, v105, v26
	v_lshrrev_b32_e32 v71, 16, v61
	v_add_f16_e32 v72, v27, v66
	v_fmamk_f16 v89, v88, 0xbaee, v65
	v_fmac_f16_e32 v65, 0x3aee, v88
	v_add_f16_e32 v88, v95, v94
	v_add_f16_e32 v94, v101, v30
	v_fmamk_f16 v95, v85, 0x3aee, v78
	v_fmac_f16_e32 v78, 0xbaee, v85
	v_lshrrev_b32_e32 v85, 16, v62
	v_add_f16_e32 v73, v61, v105
	v_fmac_f16_e32 v61, -0.5, v11
	v_sub_f16_e32 v11, v27, v66
	v_add_f16_e32 v27, v71, v27
	v_fmac_f16_e32 v71, -0.5, v72
	v_sub_f16_e32 v72, v105, v26
	v_add_f16_e32 v106, v62, v101
	v_fmac_f16_e32 v62, -0.5, v94
	v_add_f16_e32 v94, v31, v32
	v_add_f16_e32 v107, v85, v31
	v_sub_f16_e32 v31, v31, v32
	v_add_f16_e32 v26, v73, v26
	v_fmamk_f16 v73, v11, 0xbaee, v61
	v_fmac_f16_e32 v61, 0x3aee, v11
	v_add_f16_e32 v11, v27, v66
	v_fmamk_f16 v27, v72, 0x3aee, v71
	v_add_f16_e32 v66, v28, v68
	v_fmac_f16_e32 v71, 0xbaee, v72
	v_lshrrev_b32_e32 v72, 16, v60
	v_fmac_f16_e32 v85, -0.5, v94
	v_add_f16_e32 v94, v106, v30
	v_sub_f16_e32 v30, v101, v30
	v_fmamk_f16 v101, v31, 0xbaee, v62
	v_fmac_f16_e32 v62, 0x3aee, v31
	v_add_f16_e32 v31, v107, v32
	v_add_f16_e32 v32, v97, v96
	;; [unrolled: 1-line block ×4, first 2 shown]
	v_fmac_f16_e32 v60, -0.5, v66
	v_sub_f16_e32 v66, v29, v67
	v_add_f16_e32 v29, v72, v29
	v_fmamk_f16 v106, v30, 0x3aee, v85
	v_fmac_f16_e32 v85, 0xbaee, v30
	v_lshrrev_b32_e32 v30, 16, v63
	v_add_f16_e32 v107, v63, v97
	v_fmac_f16_e32 v63, -0.5, v32
	v_sub_f16_e32 v32, v33, v98
	v_fmac_f16_e32 v72, -0.5, v74
	v_sub_f16_e32 v28, v28, v68
	v_add_f16_e32 v29, v29, v67
	v_add_f16_e32 v67, v69, v70
	v_fmamk_f16 v108, v32, 0xbaee, v63
	v_fmac_f16_e32 v63, 0x3aee, v32
	v_add_f16_e32 v32, v30, v33
	v_add_f16_e32 v33, v33, v98
	;; [unrolled: 1-line block ×3, first 2 shown]
	v_fmamk_f16 v74, v66, 0xbaee, v60
	v_fmac_f16_e32 v60, 0x3aee, v66
	v_fmamk_f16 v66, v28, 0x3aee, v72
	v_fmac_f16_e32 v72, 0xbaee, v28
	v_lshrrev_b32_e32 v28, 16, v8
	v_add_f16_e32 v75, v10, v9
	v_add_f16_e32 v76, v8, v69
	v_fmac_f16_e32 v8, -0.5, v67
	v_sub_f16_e32 v67, v10, v9
	v_fmac_f16_e32 v30, -0.5, v33
	v_add_f16_e32 v33, v107, v96
	v_sub_f16_e32 v96, v97, v96
	v_add_f16_e32 v10, v28, v10
	v_fmac_f16_e32 v28, -0.5, v75
	v_sub_f16_e32 v69, v69, v70
	v_fmamk_f16 v75, v67, 0xbaee, v8
	v_fmac_f16_e32 v8, 0x3aee, v67
	v_pack_b32_f16 v67, v104, v88
	v_pack_b32_f16 v31, v94, v31
	v_add_f16_e32 v32, v32, v98
	v_fmamk_f16 v57, v96, 0x3aee, v30
	v_fmac_f16_e32 v30, 0xbaee, v96
	v_add_f16_e32 v9, v10, v9
	v_fmamk_f16 v10, v69, 0x3aee, v28
	v_fmac_f16_e32 v28, 0xbaee, v69
	v_pack_b32_f16 v69, v89, v95
	ds_store_2addr_b32 v42, v67, v31 offset0:32 offset1:167
	v_pack_b32_f16 v31, v101, v106
	v_pack_b32_f16 v65, v65, v78
	;; [unrolled: 1-line block ×3, first 2 shown]
	v_add_nc_u32_e32 v62, 0x2400, v44
	v_add_f16_e32 v70, v76, v70
	v_pack_b32_f16 v32, v33, v32
	v_pack_b32_f16 v11, v26, v11
	v_pack_b32_f16 v33, v108, v57
	v_pack_b32_f16 v26, v73, v27
	v_pack_b32_f16 v30, v63, v30
	v_pack_b32_f16 v27, v61, v71
	ds_store_2addr_b32 v47, v69, v31 offset0:98 offset1:233
	ds_store_2addr_b32 v62, v65, v42 offset0:36 offset1:171
	ds_store_b32 v56, v32
	ds_store_b32 v56, v33 offset:1800
	ds_store_b32 v56, v30 offset:3600
	v_lshl_add_u32 v30, v58, 2, 0
	v_pack_b32_f16 v29, v68, v29
	v_pack_b32_f16 v31, v74, v66
	;; [unrolled: 1-line block ×3, first 2 shown]
	v_lshl_add_u32 v33, v59, 2, 0
	v_pack_b32_f16 v9, v70, v9
	v_pack_b32_f16 v10, v75, v10
	;; [unrolled: 1-line block ×3, first 2 shown]
	ds_store_b32 v0, v11 offset:10800
	ds_store_b32 v0, v26 offset:12600
	;; [unrolled: 1-line block ×9, first 2 shown]
	v_lshlrev_b32_e32 v0, 1, v24
	global_wb scope:SCOPE_SE
	s_wait_dscnt 0x0
	s_barrier_signal -1
	s_barrier_wait -1
	global_inv scope:SCOPE_SE
	s_clause 0x1
	global_load_b64 v[8:9], v[2:3], off offset:5360
	global_load_b64 v[10:11], v[4:5], off offset:5360
	v_lshlrev_b64_e32 v[2:3], 2, v[0:1]
	v_lshlrev_b32_e32 v0, 1, v23
	global_load_b64 v[26:27], v[6:7], off offset:5360
	v_add_co_u32 v2, s0, s4, v2
	s_wait_alu 0xf1ff
	v_add_co_ci_u32_e64 v3, s0, s5, v3, s0
	global_load_b64 v[28:29], v[2:3], off offset:5360
	v_lshlrev_b64_e32 v[2:3], 2, v[0:1]
	v_lshlrev_b32_e32 v0, 1, v22
	s_delay_alu instid0(VALU_DEP_2) | instskip(NEXT) | instid1(VALU_DEP_2)
	v_add_co_u32 v2, s0, s4, v2
	v_lshlrev_b64_e32 v[4:5], 2, v[0:1]
	s_wait_alu 0xf1ff
	s_delay_alu instid0(VALU_DEP_4)
	v_add_co_ci_u32_e64 v3, s0, s5, v3, s0
	v_lshlrev_b32_e32 v0, 1, v21
	global_load_b64 v[30:31], v[2:3], off offset:5360
	v_add_co_u32 v2, s0, s4, v4
	s_wait_alu 0xf1ff
	v_add_co_ci_u32_e64 v3, s0, s5, v5, s0
	global_load_b64 v[32:33], v[2:3], off offset:5360
	v_lshlrev_b64_e32 v[2:3], 2, v[0:1]
	v_lshlrev_b32_e32 v0, 1, v20
	s_delay_alu instid0(VALU_DEP_2) | instskip(NEXT) | instid1(VALU_DEP_2)
	v_add_co_u32 v2, s0, s4, v2
	v_lshlrev_b64_e32 v[4:5], 2, v[0:1]
	s_wait_alu 0xf1ff
	s_delay_alu instid0(VALU_DEP_4)
	v_add_co_ci_u32_e64 v3, s0, s5, v3, s0
	v_lshlrev_b32_e32 v0, 1, v19
	global_load_b64 v[56:57], v[2:3], off offset:5360
	v_add_co_u32 v2, s0, s4, v4
	s_wait_alu 0xf1ff
	v_add_co_ci_u32_e64 v3, s0, s5, v5, s0
	global_load_b64 v[58:59], v[2:3], off offset:5360
	v_lshlrev_b64_e32 v[2:3], 2, v[0:1]
	v_lshlrev_b32_e32 v0, 1, v16
	s_delay_alu instid0(VALU_DEP_2) | instskip(SKIP_1) | instid1(VALU_DEP_3)
	v_add_co_u32 v2, s0, s4, v2
	s_wait_alu 0xf1ff
	v_add_co_ci_u32_e64 v3, s0, s5, v3, s0
	s_delay_alu instid0(VALU_DEP_3)
	v_lshlrev_b64_e32 v[4:5], 2, v[0:1]
	global_load_b64 v[60:61], v[2:3], off offset:5360
	v_add_co_u32 v2, s0, s4, v4
	s_wait_alu 0xf1ff
	v_add_co_ci_u32_e64 v3, s0, s5, v5, s0
	global_load_b64 v[62:63], v[2:3], off offset:5360
	ds_load_2addr_b32 v[64:65], v48 offset0:12 offset1:147
	ds_load_2addr_b32 v[66:67], v53 offset0:84 offset1:219
	;; [unrolled: 1-line block ×4, first 2 shown]
	ds_load_b32 v7, v44
	ds_load_u16 v42, v44 offset:5942
	ds_load_2addr_b32 v[70:71], v47 offset0:98 offset1:233
	ds_load_2addr_b32 v[52:53], v52 offset0:40 offset1:175
	ds_load_b32 v3, v36
	ds_load_b32 v2, v55
	;; [unrolled: 1-line block ×6, first 2 shown]
	s_wait_dscnt 0xd
	v_lshrrev_b32_e32 v78, 16, v64
	v_lshrrev_b32_e32 v50, 16, v65
	s_wait_dscnt 0xc
	v_lshrrev_b32_e32 v72, 16, v66
	s_wait_dscnt 0xa
	v_lshrrev_b32_e32 v76, 16, v48
	v_lshrrev_b32_e32 v73, 16, v68
	;; [unrolled: 1-line block ×4, first 2 shown]
	s_wait_loadcnt 0x9
	v_lshrrev_b32_e32 v47, 16, v8
	v_lshrrev_b32_e32 v77, 16, v9
	s_wait_loadcnt 0x8
	v_lshrrev_b32_e32 v81, 16, v10
	s_delay_alu instid0(VALU_DEP_3) | instskip(SKIP_3) | instid1(VALU_DEP_4)
	v_mul_f16_e32 v79, v47, v76
	v_mul_f16_e32 v47, v47, v48
	v_mul_f16_e32 v80, v77, v78
	v_mul_f16_e32 v77, v77, v64
	v_fmac_f16_e32 v79, v8, v48
	s_delay_alu instid0(VALU_DEP_4) | instskip(NEXT) | instid1(VALU_DEP_4)
	v_fma_f16 v47, v8, v76, -v47
	v_fmac_f16_e32 v80, v9, v64
	s_wait_dscnt 0x8
	v_mul_f16_e32 v64, v42, v81
	v_lshrrev_b32_e32 v76, 16, v11
	v_fma_f16 v48, v9, v78, -v77
	v_mul_f16_e32 v78, v81, v49
	ds_load_2addr_b32 v[8:9], v46 offset0:112 offset1:247
	v_fmac_f16_e32 v64, v10, v49
	v_mul_f16_e32 v49, v50, v76
	ds_load_2addr_b32 v[45:46], v45 offset0:54 offset1:189
	v_fma_f16 v42, v42, v10, -v78
	v_mul_f16_e32 v10, v65, v76
	s_wait_loadcnt 0x7
	v_lshrrev_b32_e32 v76, 16, v26
	v_fmac_f16_e32 v49, v65, v11
	v_lshrrev_b32_e32 v65, 16, v27
	s_wait_dscnt 0x9
	v_lshrrev_b32_e32 v77, 16, v70
	v_fma_f16 v50, v50, v11, -v10
	v_mul_f16_e32 v78, v72, v76
	v_mul_f16_e32 v10, v66, v76
	;; [unrolled: 1-line block ×4, first 2 shown]
	s_wait_loadcnt 0x6
	v_lshrrev_b32_e32 v65, 16, v28
	v_fmac_f16_e32 v78, v66, v26
	v_fma_f16 v66, v72, v26, -v10
	v_fmac_f16_e32 v76, v68, v27
	v_fma_f16 v68, v73, v27, -v11
	v_mul_f16_e32 v72, v74, v65
	v_lshrrev_b32_e32 v10, 16, v29
	v_mul_f16_e32 v11, v67, v65
	s_wait_dscnt 0x8
	v_lshrrev_b32_e32 v81, 16, v52
	s_wait_loadcnt 0x5
	v_lshrrev_b32_e32 v26, 16, v31
	v_fmac_f16_e32 v72, v67, v28
	v_mul_f16_e32 v67, v75, v10
	v_fma_f16 v28, v74, v28, -v11
	v_mul_f16_e32 v10, v69, v10
	v_lshrrev_b32_e32 v11, 16, v30
	v_lshrrev_b32_e32 v65, 16, v71
	;; [unrolled: 1-line block ×3, first 2 shown]
	v_fmac_f16_e32 v67, v69, v29
	v_fma_f16 v29, v75, v29, -v10
	v_mul_f16_e32 v10, v70, v11
	v_mul_f16_e32 v75, v77, v11
	;; [unrolled: 1-line block ×3, first 2 shown]
	s_wait_loadcnt 0x4
	v_lshrrev_b32_e32 v27, 16, v32
	v_mul_f16_e32 v82, v81, v26
	v_lshrrev_b32_e32 v26, 16, v33
	v_fma_f16 v77, v77, v30, -v10
	v_fma_f16 v81, v81, v31, -v11
	v_mul_f16_e32 v83, v65, v27
	v_fmac_f16_e32 v75, v70, v30
	v_fmac_f16_e32 v82, v52, v31
	v_mul_f16_e32 v30, v73, v26
	v_mul_f16_e32 v52, v71, v27
	ds_load_2addr_b32 v[10:11], v51 offset0:62 offset1:197
	v_mul_f16_e32 v51, v53, v26
	ds_load_2addr_b32 v[26:27], v18 offset0:68 offset1:203
	s_wait_loadcnt 0x3
	v_lshrrev_b32_e32 v18, 16, v57
	s_wait_dscnt 0x2
	v_lshrrev_b32_e32 v69, 16, v45
	v_fmac_f16_e32 v83, v71, v32
	v_fma_f16 v32, v65, v32, -v52
	v_lshrrev_b32_e32 v31, 16, v9
	v_mul_f16_e32 v65, v45, v18
	v_lshrrev_b32_e32 v52, 16, v46
	s_wait_loadcnt 0x2
	v_lshrrev_b32_e32 v70, 16, v58
	v_mul_f16_e32 v18, v69, v18
	v_lshrrev_b32_e32 v74, 16, v8
	v_fma_f16 v65, v69, v57, -v65
	v_lshrrev_b32_e32 v69, 16, v59
	v_fmac_f16_e32 v30, v53, v33
	v_lshrrev_b32_e32 v53, 16, v56
	v_mul_f16_e32 v71, v31, v70
	v_fmac_f16_e32 v18, v45, v57
	v_mul_f16_e32 v45, v52, v69
	v_fma_f16 v33, v73, v33, -v51
	v_mul_f16_e32 v51, v8, v53
	v_mul_f16_e32 v53, v74, v53
	v_fmac_f16_e32 v71, v9, v58
	v_mul_f16_e32 v9, v9, v70
	v_fmac_f16_e32 v45, v46, v59
	v_mul_f16_e32 v46, v46, v69
	s_wait_loadcnt 0x1
	v_lshrrev_b32_e32 v69, 16, v60
	v_fma_f16 v51, v74, v56, -v51
	v_fmac_f16_e32 v53, v8, v56
	s_wait_dscnt 0x1
	v_lshrrev_b32_e32 v8, 16, v10
	s_wait_dscnt 0x0
	v_lshrrev_b32_e32 v56, 16, v26
	v_fma_f16 v9, v31, v58, -v9
	v_lshrrev_b32_e32 v31, 16, v61
	v_fma_f16 v46, v52, v59, -v46
	v_mul_f16_e32 v52, v10, v69
	v_lshrrev_b32_e32 v57, 16, v11
	v_lshrrev_b32_e32 v70, 16, v27
	v_mul_f16_e32 v59, v8, v69
	s_wait_loadcnt 0x0
	v_lshrrev_b32_e32 v69, 16, v62
	v_mul_f16_e32 v74, v56, v31
	v_fma_f16 v8, v8, v60, -v52
	v_lshrrev_b32_e32 v52, 16, v63
	ds_load_b32 v58, v41
	ds_load_b32 v73, v40
	v_mul_f16_e32 v31, v26, v31
	v_mul_f16_e32 v84, v57, v69
	v_fmac_f16_e32 v74, v26, v61
	v_mul_f16_e32 v26, v70, v52
	v_fmac_f16_e32 v59, v10, v60
	v_fma_f16 v10, v56, v61, -v31
	v_fmac_f16_e32 v84, v11, v62
	v_mul_f16_e32 v11, v11, v69
	v_fmac_f16_e32 v26, v27, v63
	v_mul_f16_e32 v27, v27, v52
	v_lshrrev_b32_e32 v31, 16, v7
	v_add_f16_e32 v61, v7, v79
	v_fma_f16 v11, v57, v62, -v11
	v_add_f16_e32 v57, v79, v80
	v_fma_f16 v27, v70, v63, -v27
	v_add_f16_e32 v63, v47, v48
	v_lshrrev_b32_e32 v62, 16, v6
	v_add_f16_e32 v61, v61, v80
	v_fmac_f16_e32 v7, -0.5, v57
	v_sub_f16_e32 v57, v47, v48
	v_add_f16_e32 v47, v31, v47
	v_fmac_f16_e32 v31, -0.5, v63
	v_sub_f16_e32 v63, v79, v80
	s_wait_dscnt 0x0
	v_lshrrev_b32_e32 v52, 16, v73
	v_fmamk_f16 v69, v57, 0xbaee, v7
	v_fmac_f16_e32 v7, 0x3aee, v57
	v_add_f16_e32 v47, v47, v48
	v_add_f16_e32 v48, v64, v49
	v_fmamk_f16 v57, v63, 0x3aee, v31
	v_add_f16_e32 v70, v73, v64
	v_fmac_f16_e32 v31, 0xbaee, v63
	v_add_f16_e32 v63, v42, v50
	v_fmac_f16_e32 v73, -0.5, v48
	v_sub_f16_e32 v48, v42, v50
	v_add_f16_e32 v70, v70, v49
	v_add_f16_e32 v42, v52, v42
	v_fmac_f16_e32 v52, -0.5, v63
	v_sub_f16_e32 v49, v64, v49
	v_lshrrev_b32_e32 v60, 16, v58
	v_fmamk_f16 v63, v48, 0xbaee, v73
	v_fmac_f16_e32 v73, 0x3aee, v48
	v_add_f16_e32 v42, v42, v50
	v_add_f16_e32 v48, v78, v76
	v_fmamk_f16 v50, v49, 0x3aee, v52
	v_fmac_f16_e32 v52, 0xbaee, v49
	v_add_f16_e32 v49, v66, v68
	v_add_f16_e32 v64, v58, v78
	v_fmac_f16_e32 v58, -0.5, v48
	v_sub_f16_e32 v48, v66, v68
	v_add_f16_e32 v66, v60, v66
	v_fmac_f16_e32 v60, -0.5, v49
	v_sub_f16_e32 v49, v78, v76
	v_add_f16_e32 v64, v64, v76
	v_fmamk_f16 v76, v48, 0xbaee, v58
	v_fmac_f16_e32 v58, 0x3aee, v48
	v_add_f16_e32 v48, v66, v68
	v_add_f16_e32 v66, v72, v67
	v_fmamk_f16 v68, v49, 0x3aee, v60
	v_fmac_f16_e32 v60, 0xbaee, v49
	v_add_f16_e32 v49, v28, v29
	v_add_f16_e32 v78, v6, v72
	v_fmac_f16_e32 v6, -0.5, v66
	v_sub_f16_e32 v66, v28, v29
	v_add_f16_e32 v28, v62, v28
	v_fmac_f16_e32 v62, -0.5, v49
	v_add_f16_e32 v78, v78, v67
	v_sub_f16_e32 v67, v72, v67
	v_lshrrev_b32_e32 v49, 16, v5
	v_fmamk_f16 v72, v66, 0xbaee, v6
	v_fmac_f16_e32 v6, 0x3aee, v66
	v_add_f16_e32 v66, v75, v82
	v_add_f16_e32 v28, v28, v29
	v_fmamk_f16 v29, v67, 0x3aee, v62
	v_fmac_f16_e32 v62, 0xbaee, v67
	v_add_f16_e32 v67, v77, v81
	v_add_f16_e32 v79, v5, v75
	v_fmac_f16_e32 v5, -0.5, v66
	v_sub_f16_e32 v66, v77, v81
	v_add_f16_e32 v77, v49, v77
	v_fmac_f16_e32 v49, -0.5, v67
	v_sub_f16_e32 v75, v75, v82
	v_add_f16_e32 v67, v79, v82
	v_fmamk_f16 v79, v66, 0xbaee, v5
	v_fmac_f16_e32 v5, 0x3aee, v66
	v_add_f16_e32 v66, v77, v81
	v_add_f16_e32 v77, v83, v30
	v_fmamk_f16 v80, v75, 0x3aee, v49
	v_fmac_f16_e32 v49, 0xbaee, v75
	v_lshrrev_b32_e32 v75, 16, v3
	v_add_f16_e32 v81, v32, v33
	v_add_f16_e32 v82, v3, v83
	v_fmac_f16_e32 v3, -0.5, v77
	v_sub_f16_e32 v77, v32, v33
	v_add_f16_e32 v32, v75, v32
	v_fmac_f16_e32 v75, -0.5, v81
	v_sub_f16_e32 v81, v83, v30
	v_add_f16_e32 v30, v82, v30
	v_fmamk_f16 v82, v77, 0xbaee, v3
	v_fmac_f16_e32 v3, 0x3aee, v77
	v_add_f16_e32 v32, v32, v33
	v_fmamk_f16 v33, v81, 0x3aee, v75
	v_add_f16_e32 v77, v53, v18
	v_fmac_f16_e32 v75, 0xbaee, v81
	v_lshrrev_b32_e32 v81, 16, v4
	v_add_f16_e32 v83, v51, v65
	v_add_f16_e32 v85, v4, v53
	v_fmac_f16_e32 v4, -0.5, v77
	v_sub_f16_e32 v77, v51, v65
	v_add_f16_e32 v51, v81, v51
	v_fmac_f16_e32 v81, -0.5, v83
	v_sub_f16_e32 v53, v53, v18
	ds_load_b32 v56, v43
	v_add_f16_e32 v18, v85, v18
	v_fmamk_f16 v83, v77, 0xbaee, v4
	v_fmac_f16_e32 v4, 0x3aee, v77
	v_add_f16_e32 v51, v51, v65
	v_fmamk_f16 v65, v53, 0x3aee, v81
	v_add_f16_e32 v77, v71, v45
	v_fmac_f16_e32 v81, 0xbaee, v53
	v_lshrrev_b32_e32 v53, 16, v2
	v_add_f16_e32 v85, v9, v46
	v_add_f16_e32 v86, v2, v71
	v_fmac_f16_e32 v2, -0.5, v77
	v_sub_f16_e32 v77, v9, v46
	v_add_f16_e32 v9, v53, v9
	v_fmac_f16_e32 v53, -0.5, v85
	v_sub_f16_e32 v71, v71, v45
	v_add_f16_e32 v45, v86, v45
	v_fmamk_f16 v85, v77, 0xbaee, v2
	v_fmac_f16_e32 v2, 0x3aee, v77
	v_add_f16_e32 v9, v9, v46
	v_fmamk_f16 v46, v71, 0x3aee, v53
	v_add_f16_e32 v77, v59, v74
	v_fmac_f16_e32 v53, 0xbaee, v71
	v_lshrrev_b32_e32 v71, 16, v0
	v_add_f16_e32 v86, v8, v10
	v_pack_b32_f16 v47, v61, v47
	v_pack_b32_f16 v57, v69, v57
	;; [unrolled: 1-line block ×3, first 2 shown]
	v_add_f16_e32 v87, v0, v59
	v_fmac_f16_e32 v0, -0.5, v77
	v_sub_f16_e32 v77, v8, v10
	v_add_f16_e32 v8, v71, v8
	v_fmac_f16_e32 v71, -0.5, v86
	v_sub_f16_e32 v59, v59, v74
	v_pack_b32_f16 v31, v70, v42
	v_pack_b32_f16 v42, v63, v50
	global_wb scope:SCOPE_SE
	s_wait_dscnt 0x0
	s_barrier_signal -1
	s_barrier_wait -1
	global_inv scope:SCOPE_SE
	v_pack_b32_f16 v50, v73, v52
	ds_store_b32 v44, v47
	ds_store_b32 v44, v57 offset:5400
	ds_store_b32 v44, v7 offset:10800
	ds_store_b32 v40, v31
	ds_store_b32 v40, v42 offset:5400
	ds_store_b32 v40, v50 offset:10800
	v_pack_b32_f16 v7, v64, v48
	v_pack_b32_f16 v31, v76, v68
	;; [unrolled: 1-line block ×3, first 2 shown]
	v_fmamk_f16 v86, v77, 0xbaee, v0
	v_fmac_f16_e32 v0, 0x3aee, v77
	v_add_f16_e32 v8, v8, v10
	v_fmamk_f16 v10, v59, 0x3aee, v71
	v_add_f16_e32 v77, v84, v26
	v_fmac_f16_e32 v71, 0xbaee, v59
	v_lshrrev_b32_e32 v59, 16, v56
	v_pack_b32_f16 v28, v78, v28
	v_add_f16_e32 v74, v87, v74
	v_add_f16_e32 v87, v11, v27
	v_pack_b32_f16 v29, v72, v29
	v_pack_b32_f16 v6, v6, v62
	ds_store_b32 v41, v7
	ds_store_b32 v41, v31 offset:5400
	ds_store_b32 v41, v40 offset:10800
	ds_store_b32 v39, v28
	ds_store_b32 v39, v29 offset:5400
	ds_store_b32 v39, v6 offset:10800
	v_pack_b32_f16 v6, v67, v66
	v_pack_b32_f16 v7, v79, v80
	;; [unrolled: 1-line block ×3, first 2 shown]
	v_add_f16_e32 v88, v56, v84
	v_fmac_f16_e32 v56, -0.5, v77
	v_sub_f16_e32 v77, v11, v27
	v_add_f16_e32 v11, v59, v11
	v_pack_b32_f16 v28, v30, v32
	v_fmac_f16_e32 v59, -0.5, v87
	v_sub_f16_e32 v84, v84, v26
	v_pack_b32_f16 v29, v82, v33
	v_pack_b32_f16 v3, v3, v75
	ds_store_b32 v37, v6
	ds_store_b32 v37, v7 offset:5400
	ds_store_b32 v37, v5 offset:10800
	ds_store_b32 v36, v28
	ds_store_b32 v36, v29 offset:5400
	ds_store_b32 v36, v3 offset:10800
	v_pack_b32_f16 v3, v18, v51
	v_pack_b32_f16 v5, v83, v65
	;; [unrolled: 1-line block ×3, first 2 shown]
	v_add_f16_e32 v26, v88, v26
	v_add_f16_e32 v11, v11, v27
	v_pack_b32_f16 v6, v45, v9
	v_fmamk_f16 v87, v77, 0xbaee, v56
	v_fmamk_f16 v27, v84, 0x3aee, v59
	v_pack_b32_f16 v7, v85, v46
	v_pack_b32_f16 v2, v2, v53
	v_fmac_f16_e32 v56, 0x3aee, v77
	v_fmac_f16_e32 v59, 0xbaee, v84
	ds_store_b32 v38, v3
	ds_store_b32 v38, v5 offset:5400
	ds_store_b32 v38, v4 offset:10800
	ds_store_b32 v55, v6
	ds_store_b32 v55, v7 offset:5400
	ds_store_b32 v55, v2 offset:10800
	v_pack_b32_f16 v2, v74, v8
	v_pack_b32_f16 v3, v86, v10
	;; [unrolled: 1-line block ×6, first 2 shown]
	ds_store_b32 v54, v2
	ds_store_b32 v54, v3 offset:5400
	ds_store_b32 v54, v0 offset:10800
	ds_store_b32 v43, v4
	ds_store_b32 v43, v5 offset:5400
	ds_store_b32 v43, v6 offset:10800
	global_wb scope:SCOPE_SE
	s_wait_dscnt 0x0
	s_barrier_signal -1
	s_barrier_wait -1
	global_inv scope:SCOPE_SE
	ds_load_b32 v8, v44
	v_sub_nc_u32_e32 v4, 0, v13
                                        ; implicit-def: $vgpr7
                                        ; implicit-def: $vgpr6
                                        ; implicit-def: $vgpr5
                                        ; implicit-def: $vgpr2_vgpr3
	s_wait_dscnt 0x0
	v_lshrrev_b32_e32 v9, 16, v8
	v_cmpx_ne_u32_e32 0, v12
	s_wait_alu 0xfffe
	s_xor_b32 s1, exec_lo, s1
	s_cbranch_execz .LBB0_15
; %bb.14:
	v_mov_b32_e32 v13, v1
	s_delay_alu instid0(VALU_DEP_1) | instskip(NEXT) | instid1(VALU_DEP_1)
	v_lshlrev_b64_e32 v[0:1], 2, v[12:13]
	v_add_co_u32 v0, s0, s4, v0
	s_wait_alu 0xf1ff
	s_delay_alu instid0(VALU_DEP_2)
	v_add_co_ci_u32_e64 v1, s0, s5, v1, s0
	global_load_b32 v0, v[0:1], off offset:16160
	ds_load_b32 v1, v4 offset:16200
	s_wait_dscnt 0x0
	v_lshrrev_b32_e32 v2, 16, v1
	v_sub_f16_e32 v3, v8, v1
	v_add_f16_e32 v1, v1, v8
	s_delay_alu instid0(VALU_DEP_3) | instskip(NEXT) | instid1(VALU_DEP_3)
	v_add_f16_e32 v5, v2, v9
	v_mul_f16_e32 v3, 0.5, v3
	v_sub_f16_e32 v2, v9, v2
	s_delay_alu instid0(VALU_DEP_3) | instskip(NEXT) | instid1(VALU_DEP_2)
	v_mul_f16_e32 v7, 0.5, v5
	v_mul_f16_e32 v2, 0.5, v2
	s_wait_loadcnt 0x0
	v_lshrrev_b32_e32 v6, 16, v0
	s_delay_alu instid0(VALU_DEP_1) | instskip(NEXT) | instid1(VALU_DEP_3)
	v_mul_f16_e32 v5, v6, v3
	v_fma_f16 v8, v7, v6, v2
	v_fma_f16 v2, v7, v6, -v2
	s_delay_alu instid0(VALU_DEP_3) | instskip(SKIP_1) | instid1(VALU_DEP_4)
	v_fma_f16 v9, 0.5, v1, v5
	v_fma_f16 v1, v1, 0.5, -v5
	v_fma_f16 v5, -v0, v3, v8
                                        ; implicit-def: $vgpr8
	s_delay_alu instid0(VALU_DEP_3) | instskip(NEXT) | instid1(VALU_DEP_3)
	v_fmac_f16_e32 v9, v0, v7
	v_fma_f16 v6, -v0, v7, v1
	v_fma_f16 v7, -v0, v3, v2
	v_dual_mov_b32 v2, v12 :: v_dual_mov_b32 v3, v13
	ds_store_b16 v44, v9
                                        ; implicit-def: $vgpr9
.LBB0_15:
	s_wait_alu 0xfffe
	s_or_saveexec_b32 s0, s1
	v_mul_i32_i24_e32 v1, 0xffffffdc, v17
	v_mul_i32_i24_e32 v0, 0xffffffdc, v25
	s_wait_alu 0xfffe
	s_xor_b32 exec_lo, exec_lo, s0
	s_cbranch_execz .LBB0_17
; %bb.16:
	v_mov_b32_e32 v5, 0
	v_add_f16_e32 v10, v9, v8
	v_sub_f16_e32 v6, v8, v9
	v_mov_b32_e32 v7, 0
	ds_load_u16 v2, v5 offset:8102
	s_wait_dscnt 0x0
	v_xor_b32_e32 v8, 0x8000, v2
	v_mov_b32_e32 v2, 0
	v_mov_b32_e32 v3, 0
	ds_store_b16 v44, v10
	ds_store_b16 v5, v8 offset:8102
.LBB0_17:
	s_or_b32 exec_lo, exec_lo, s0
	v_mov_b32_e32 v18, 0
	ds_store_b16 v44, v5 offset:2
	v_lshlrev_b64_e32 v[8:9], 2, v[17:18]
	v_dual_mov_b32 v26, v18 :: v_dual_add_nc_u32 v17, v35, v1
	ds_load_b32 v1, v4 offset:15660
	v_add_co_u32 v8, s0, s4, v8
	s_wait_alu 0xf1ff
	v_add_co_ci_u32_e64 v9, s0, s5, v9, s0
	global_load_b32 v10, v[8:9], off offset:16160
	v_lshlrev_b64_e32 v[8:9], 2, v[25:26]
	v_mov_b32_e32 v25, v18
	s_delay_alu instid0(VALU_DEP_2) | instskip(SKIP_1) | instid1(VALU_DEP_3)
	v_add_co_u32 v8, s0, s4, v8
	s_wait_alu 0xf1ff
	v_add_co_ci_u32_e64 v9, s0, s5, v9, s0
	global_load_b32 v11, v[8:9], off offset:16160
	v_lshlrev_b64_e32 v[8:9], 2, v[24:25]
	v_mov_b32_e32 v24, v18
	s_delay_alu instid0(VALU_DEP_2) | instskip(SKIP_1) | instid1(VALU_DEP_3)
	;; [unrolled: 7-line block ×4, first 2 shown]
	v_add_co_u32 v8, s0, s4, v8
	s_wait_alu 0xf1ff
	v_add_co_ci_u32_e64 v9, s0, s5, v9, s0
	global_load_b32 v8, v[8:9], off offset:16160
	v_perm_b32 v9, v7, v6, 0x5040100
	v_lshlrev_b64_e32 v[6:7], 2, v[21:22]
	ds_store_b32 v4, v9 offset:16200
	ds_load_b32 v9, v17
	v_add_co_u32 v5, s0, s4, v6
	s_wait_alu 0xf1ff
	v_add_co_ci_u32_e64 v6, s0, s5, v7, s0
	global_load_b32 v7, v[5:6], off offset:16160
	s_wait_dscnt 0x0
	v_pk_add_f16 v5, v9, v1 neg_lo:[0,1] neg_hi:[0,1]
	v_pk_add_f16 v1, v9, v1
	s_delay_alu instid0(VALU_DEP_1) | instskip(SKIP_1) | instid1(VALU_DEP_2)
	v_bfi_b32 v6, 0xffff, v5, v1
	v_bfi_b32 v1, 0xffff, v1, v5
	v_pk_mul_f16 v5, v6, 0.5 op_sel_hi:[1,0]
	s_delay_alu instid0(VALU_DEP_2) | instskip(SKIP_1) | instid1(VALU_DEP_1)
	v_pk_mul_f16 v1, v1, 0.5 op_sel_hi:[1,0]
	s_wait_loadcnt 0x5
	v_pk_fma_f16 v6, v10, v5, v1 op_sel:[1,0,0]
	v_pk_mul_f16 v9, v10, v5 op_sel_hi:[0,1]
	v_pk_fma_f16 v21, v10, v5, v1 op_sel:[1,0,0] neg_lo:[1,0,0] neg_hi:[1,0,0]
	v_pk_fma_f16 v1, v10, v5, v1 op_sel:[1,0,0] neg_lo:[0,0,1] neg_hi:[0,0,1]
	s_delay_alu instid0(VALU_DEP_3) | instskip(SKIP_1) | instid1(VALU_DEP_4)
	v_pk_add_f16 v5, v6, v9 op_sel:[0,1] op_sel_hi:[1,0]
	v_pk_add_f16 v6, v6, v9 op_sel:[0,1] op_sel_hi:[1,0] neg_lo:[0,1] neg_hi:[0,1]
	v_pk_add_f16 v10, v21, v9 op_sel:[0,1] op_sel_hi:[1,0] neg_lo:[0,1] neg_hi:[0,1]
	v_mov_b32_e32 v21, v18
	v_pk_add_f16 v1, v1, v9 op_sel:[0,1] op_sel_hi:[1,0] neg_lo:[0,1] neg_hi:[0,1]
	v_add_nc_u32_e32 v9, v34, v0
	v_bfi_b32 v5, 0xffff, v5, v6
	s_delay_alu instid0(VALU_DEP_3)
	v_bfi_b32 v6, 0xffff, v10, v1
	v_lshlrev_b64_e32 v[0:1], 2, v[20:21]
	ds_store_b32 v17, v5
	ds_store_b32 v4, v6 offset:15660
	ds_load_b32 v5, v9
	ds_load_b32 v6, v4 offset:15120
	v_mov_b32_e32 v20, v18
	v_add_co_u32 v0, s0, s4, v0
	s_wait_alu 0xf1ff
	v_add_co_ci_u32_e64 v1, s0, s5, v1, s0
	global_load_b32 v10, v[0:1], off offset:16160
	s_wait_dscnt 0x0
	v_pk_add_f16 v0, v5, v6 neg_lo:[0,1] neg_hi:[0,1]
	v_pk_add_f16 v1, v5, v6
	s_delay_alu instid0(VALU_DEP_1) | instskip(SKIP_1) | instid1(VALU_DEP_2)
	v_bfi_b32 v5, 0xffff, v0, v1
	v_bfi_b32 v0, 0xffff, v1, v0
	v_pk_mul_f16 v1, v5, 0.5 op_sel_hi:[1,0]
	s_delay_alu instid0(VALU_DEP_2) | instskip(SKIP_1) | instid1(VALU_DEP_2)
	v_pk_mul_f16 v0, v0, 0.5 op_sel_hi:[1,0]
	s_wait_loadcnt 0x5
	v_pk_mul_f16 v6, v11, v1 op_sel_hi:[0,1]
	s_delay_alu instid0(VALU_DEP_2) | instskip(SKIP_2) | instid1(VALU_DEP_3)
	v_pk_fma_f16 v5, v11, v1, v0 op_sel:[1,0,0]
	v_pk_fma_f16 v17, v11, v1, v0 op_sel:[1,0,0] neg_lo:[1,0,0] neg_hi:[1,0,0]
	v_pk_fma_f16 v0, v11, v1, v0 op_sel:[1,0,0] neg_lo:[0,0,1] neg_hi:[0,0,1]
	v_pk_add_f16 v1, v5, v6 op_sel:[0,1] op_sel_hi:[1,0]
	v_pk_add_f16 v5, v5, v6 op_sel:[0,1] op_sel_hi:[1,0] neg_lo:[0,1] neg_hi:[0,1]
	s_delay_alu instid0(VALU_DEP_4) | instskip(SKIP_2) | instid1(VALU_DEP_4)
	v_pk_add_f16 v11, v17, v6 op_sel:[0,1] op_sel_hi:[1,0] neg_lo:[0,1] neg_hi:[0,1]
	v_mov_b32_e32 v17, v18
	v_pk_add_f16 v0, v0, v6 op_sel:[0,1] op_sel_hi:[1,0] neg_lo:[0,1] neg_hi:[0,1]
	v_bfi_b32 v5, 0xffff, v1, v5
	s_delay_alu instid0(VALU_DEP_2)
	v_bfi_b32 v6, 0xffff, v11, v0
	v_lshlrev_b64_e32 v[0:1], 2, v[19:20]
	ds_store_b32 v9, v5
	ds_store_b32 v4, v6 offset:15120
	ds_load_b32 v5, v39
	ds_load_b32 v6, v4 offset:14580
	v_add_co_u32 v0, s0, s4, v0
	s_wait_alu 0xf1ff
	v_add_co_ci_u32_e64 v1, s0, s5, v1, s0
	s_add_nc_u64 s[0:1], s[4:5], 0x3f20
	global_load_b32 v9, v[0:1], off offset:16160
	v_lshlrev_b64_e32 v[0:1], 2, v[2:3]
	v_lshlrev_b64_e32 v[2:3], 2, v[16:17]
	s_wait_dscnt 0x0
	v_pk_add_f16 v11, v5, v6 neg_lo:[0,1] neg_hi:[0,1]
	v_pk_add_f16 v16, v5, v6
	s_wait_alu 0xfffe
	v_add_co_u32 v5, s0, s0, v0
	s_wait_alu 0xf1ff
	v_add_co_ci_u32_e64 v6, s0, s1, v1, s0
	v_bfi_b32 v17, 0xffff, v11, v16
	v_bfi_b32 v11, 0xffff, v16, v11
	v_add_co_u32 v2, s0, s4, v2
	s_wait_alu 0xf1ff
	v_add_co_ci_u32_e64 v3, s0, s5, v3, s0
	v_pk_mul_f16 v16, v17, 0.5 op_sel_hi:[1,0]
	v_pk_mul_f16 v11, v11, 0.5 op_sel_hi:[1,0]
	s_clause 0x1
	global_load_b32 v2, v[2:3], off offset:16160
	global_load_b32 v3, v[5:6], off offset:5400
	s_wait_loadcnt 0x7
	v_pk_mul_f16 v18, v13, v16 op_sel_hi:[0,1]
	v_pk_fma_f16 v17, v13, v16, v11 op_sel:[1,0,0]
	v_pk_fma_f16 v19, v13, v16, v11 op_sel:[1,0,0] neg_lo:[1,0,0] neg_hi:[1,0,0]
	v_pk_fma_f16 v11, v13, v16, v11 op_sel:[1,0,0] neg_lo:[0,0,1] neg_hi:[0,0,1]
	s_delay_alu instid0(VALU_DEP_3) | instskip(SKIP_1) | instid1(VALU_DEP_4)
	v_pk_add_f16 v13, v17, v18 op_sel:[0,1] op_sel_hi:[1,0]
	v_pk_add_f16 v16, v17, v18 op_sel:[0,1] op_sel_hi:[1,0] neg_lo:[0,1] neg_hi:[0,1]
	v_pk_add_f16 v17, v19, v18 op_sel:[0,1] op_sel_hi:[1,0] neg_lo:[0,1] neg_hi:[0,1]
	s_delay_alu instid0(VALU_DEP_4) | instskip(NEXT) | instid1(VALU_DEP_3)
	v_pk_add_f16 v11, v11, v18 op_sel:[0,1] op_sel_hi:[1,0] neg_lo:[0,1] neg_hi:[0,1]
	v_bfi_b32 v13, 0xffff, v13, v16
	s_delay_alu instid0(VALU_DEP_2)
	v_bfi_b32 v11, 0xffff, v17, v11
	ds_store_b32 v39, v13
	ds_store_b32 v4, v11 offset:14580
	ds_load_b32 v11, v37
	ds_load_b32 v13, v4 offset:14040
	s_wait_dscnt 0x0
	v_pk_add_f16 v16, v11, v13 neg_lo:[0,1] neg_hi:[0,1]
	v_pk_add_f16 v11, v11, v13
	s_delay_alu instid0(VALU_DEP_1) | instskip(SKIP_1) | instid1(VALU_DEP_2)
	v_bfi_b32 v13, 0xffff, v16, v11
	v_bfi_b32 v11, 0xffff, v11, v16
	v_pk_mul_f16 v13, v13, 0.5 op_sel_hi:[1,0]
	s_delay_alu instid0(VALU_DEP_2) | instskip(SKIP_1) | instid1(VALU_DEP_2)
	v_pk_mul_f16 v11, v11, 0.5 op_sel_hi:[1,0]
	s_wait_loadcnt 0x6
	v_pk_mul_f16 v17, v24, v13 op_sel_hi:[0,1]
	s_delay_alu instid0(VALU_DEP_2) | instskip(SKIP_2) | instid1(VALU_DEP_3)
	v_pk_fma_f16 v16, v24, v13, v11 op_sel:[1,0,0]
	v_pk_fma_f16 v18, v24, v13, v11 op_sel:[1,0,0] neg_lo:[1,0,0] neg_hi:[1,0,0]
	v_pk_fma_f16 v11, v24, v13, v11 op_sel:[1,0,0] neg_lo:[0,0,1] neg_hi:[0,0,1]
	v_pk_add_f16 v13, v16, v17 op_sel:[0,1] op_sel_hi:[1,0]
	v_pk_add_f16 v16, v16, v17 op_sel:[0,1] op_sel_hi:[1,0] neg_lo:[0,1] neg_hi:[0,1]
	s_delay_alu instid0(VALU_DEP_4) | instskip(NEXT) | instid1(VALU_DEP_4)
	v_pk_add_f16 v18, v18, v17 op_sel:[0,1] op_sel_hi:[1,0] neg_lo:[0,1] neg_hi:[0,1]
	v_pk_add_f16 v11, v11, v17 op_sel:[0,1] op_sel_hi:[1,0] neg_lo:[0,1] neg_hi:[0,1]
	s_delay_alu instid0(VALU_DEP_3) | instskip(NEXT) | instid1(VALU_DEP_2)
	v_bfi_b32 v13, 0xffff, v13, v16
	v_bfi_b32 v11, 0xffff, v18, v11
	ds_store_b32 v37, v13
	ds_store_b32 v4, v11 offset:14040
	ds_load_b32 v11, v36
	ds_load_b32 v13, v4 offset:13500
	s_wait_dscnt 0x0
	v_pk_add_f16 v16, v11, v13 neg_lo:[0,1] neg_hi:[0,1]
	v_pk_add_f16 v11, v11, v13
	s_delay_alu instid0(VALU_DEP_1) | instskip(SKIP_1) | instid1(VALU_DEP_2)
	v_bfi_b32 v13, 0xffff, v16, v11
	v_bfi_b32 v11, 0xffff, v11, v16
	v_pk_mul_f16 v13, v13, 0.5 op_sel_hi:[1,0]
	s_delay_alu instid0(VALU_DEP_2) | instskip(SKIP_1) | instid1(VALU_DEP_2)
	v_pk_mul_f16 v11, v11, 0.5 op_sel_hi:[1,0]
	s_wait_loadcnt 0x5
	v_pk_mul_f16 v17, v8, v13 op_sel_hi:[0,1]
	s_delay_alu instid0(VALU_DEP_2) | instskip(SKIP_2) | instid1(VALU_DEP_3)
	v_pk_fma_f16 v16, v8, v13, v11 op_sel:[1,0,0]
	v_pk_fma_f16 v18, v8, v13, v11 op_sel:[1,0,0] neg_lo:[1,0,0] neg_hi:[1,0,0]
	v_pk_fma_f16 v8, v8, v13, v11 op_sel:[1,0,0] neg_lo:[0,0,1] neg_hi:[0,0,1]
	v_pk_add_f16 v11, v16, v17 op_sel:[0,1] op_sel_hi:[1,0]
	v_pk_add_f16 v13, v16, v17 op_sel:[0,1] op_sel_hi:[1,0] neg_lo:[0,1] neg_hi:[0,1]
	s_delay_alu instid0(VALU_DEP_4) | instskip(NEXT) | instid1(VALU_DEP_4)
	v_pk_add_f16 v16, v18, v17 op_sel:[0,1] op_sel_hi:[1,0] neg_lo:[0,1] neg_hi:[0,1]
	v_pk_add_f16 v8, v8, v17 op_sel:[0,1] op_sel_hi:[1,0] neg_lo:[0,1] neg_hi:[0,1]
	s_delay_alu instid0(VALU_DEP_3) | instskip(NEXT) | instid1(VALU_DEP_2)
	v_bfi_b32 v11, 0xffff, v11, v13
	v_bfi_b32 v8, 0xffff, v16, v8
	ds_store_b32 v36, v11
	ds_store_b32 v4, v8 offset:13500
	ds_load_b32 v8, v38
	ds_load_b32 v11, v4 offset:12960
	global_load_b32 v13, v[5:6], off offset:5940
	s_wait_dscnt 0x0
	v_pk_add_f16 v16, v8, v11 neg_lo:[0,1] neg_hi:[0,1]
	v_pk_add_f16 v8, v8, v11
	s_delay_alu instid0(VALU_DEP_1) | instskip(SKIP_1) | instid1(VALU_DEP_2)
	v_bfi_b32 v11, 0xffff, v16, v8
	v_bfi_b32 v8, 0xffff, v8, v16
	v_pk_mul_f16 v11, v11, 0.5 op_sel_hi:[1,0]
	s_delay_alu instid0(VALU_DEP_2) | instskip(SKIP_1) | instid1(VALU_DEP_2)
	v_pk_mul_f16 v8, v8, 0.5 op_sel_hi:[1,0]
	s_wait_loadcnt 0x5
	v_pk_mul_f16 v17, v7, v11 op_sel_hi:[0,1]
	s_delay_alu instid0(VALU_DEP_2) | instskip(SKIP_2) | instid1(VALU_DEP_3)
	v_pk_fma_f16 v16, v7, v11, v8 op_sel:[1,0,0]
	v_pk_fma_f16 v18, v7, v11, v8 op_sel:[1,0,0] neg_lo:[1,0,0] neg_hi:[1,0,0]
	v_pk_fma_f16 v7, v7, v11, v8 op_sel:[1,0,0] neg_lo:[0,0,1] neg_hi:[0,0,1]
	v_pk_add_f16 v8, v16, v17 op_sel:[0,1] op_sel_hi:[1,0]
	v_pk_add_f16 v11, v16, v17 op_sel:[0,1] op_sel_hi:[1,0] neg_lo:[0,1] neg_hi:[0,1]
	s_delay_alu instid0(VALU_DEP_4) | instskip(NEXT) | instid1(VALU_DEP_4)
	v_pk_add_f16 v16, v18, v17 op_sel:[0,1] op_sel_hi:[1,0] neg_lo:[0,1] neg_hi:[0,1]
	v_pk_add_f16 v7, v7, v17 op_sel:[0,1] op_sel_hi:[1,0] neg_lo:[0,1] neg_hi:[0,1]
	s_delay_alu instid0(VALU_DEP_3) | instskip(NEXT) | instid1(VALU_DEP_2)
	v_bfi_b32 v8, 0xffff, v8, v11
	v_bfi_b32 v7, 0xffff, v16, v7
	ds_store_b32 v38, v8
	ds_store_b32 v4, v7 offset:12960
	ds_load_b32 v7, v55
	ds_load_b32 v8, v4 offset:12420
	global_load_b32 v11, v[5:6], off offset:6480
	s_wait_dscnt 0x0
	v_pk_add_f16 v16, v7, v8 neg_lo:[0,1] neg_hi:[0,1]
	v_pk_add_f16 v7, v7, v8
	s_delay_alu instid0(VALU_DEP_1) | instskip(SKIP_1) | instid1(VALU_DEP_2)
	v_bfi_b32 v8, 0xffff, v16, v7
	v_bfi_b32 v7, 0xffff, v7, v16
	v_pk_mul_f16 v8, v8, 0.5 op_sel_hi:[1,0]
	s_delay_alu instid0(VALU_DEP_2) | instskip(SKIP_1) | instid1(VALU_DEP_1)
	v_pk_mul_f16 v7, v7, 0.5 op_sel_hi:[1,0]
	s_wait_loadcnt 0x5
	v_pk_fma_f16 v16, v10, v8, v7 op_sel:[1,0,0]
	v_pk_mul_f16 v17, v10, v8 op_sel_hi:[0,1]
	v_pk_fma_f16 v18, v10, v8, v7 op_sel:[1,0,0] neg_lo:[1,0,0] neg_hi:[1,0,0]
	v_pk_fma_f16 v7, v10, v8, v7 op_sel:[1,0,0] neg_lo:[0,0,1] neg_hi:[0,0,1]
	s_delay_alu instid0(VALU_DEP_3) | instskip(SKIP_1) | instid1(VALU_DEP_4)
	v_pk_add_f16 v8, v16, v17 op_sel:[0,1] op_sel_hi:[1,0]
	v_pk_add_f16 v10, v16, v17 op_sel:[0,1] op_sel_hi:[1,0] neg_lo:[0,1] neg_hi:[0,1]
	v_pk_add_f16 v16, v18, v17 op_sel:[0,1] op_sel_hi:[1,0] neg_lo:[0,1] neg_hi:[0,1]
	s_delay_alu instid0(VALU_DEP_4) | instskip(NEXT) | instid1(VALU_DEP_3)
	v_pk_add_f16 v7, v7, v17 op_sel:[0,1] op_sel_hi:[1,0] neg_lo:[0,1] neg_hi:[0,1]
	v_bfi_b32 v8, 0xffff, v8, v10
	s_delay_alu instid0(VALU_DEP_2)
	v_bfi_b32 v7, 0xffff, v16, v7
	ds_store_b32 v55, v8
	ds_store_b32 v4, v7 offset:12420
	ds_load_b32 v7, v54
	ds_load_b32 v8, v4 offset:11880
	global_load_b32 v10, v[5:6], off offset:7020
	s_wait_dscnt 0x0
	v_pk_add_f16 v16, v7, v8 neg_lo:[0,1] neg_hi:[0,1]
	v_pk_add_f16 v7, v7, v8
	s_delay_alu instid0(VALU_DEP_1) | instskip(SKIP_1) | instid1(VALU_DEP_2)
	v_bfi_b32 v8, 0xffff, v16, v7
	v_bfi_b32 v7, 0xffff, v7, v16
	v_pk_mul_f16 v8, v8, 0.5 op_sel_hi:[1,0]
	s_delay_alu instid0(VALU_DEP_2) | instskip(SKIP_1) | instid1(VALU_DEP_1)
	v_pk_mul_f16 v7, v7, 0.5 op_sel_hi:[1,0]
	s_wait_loadcnt 0x5
	v_pk_fma_f16 v16, v9, v8, v7 op_sel:[1,0,0]
	v_pk_mul_f16 v17, v9, v8 op_sel_hi:[0,1]
	v_pk_fma_f16 v18, v9, v8, v7 op_sel:[1,0,0] neg_lo:[1,0,0] neg_hi:[1,0,0]
	v_pk_fma_f16 v7, v9, v8, v7 op_sel:[1,0,0] neg_lo:[0,0,1] neg_hi:[0,0,1]
	s_delay_alu instid0(VALU_DEP_3) | instskip(SKIP_1) | instid1(VALU_DEP_4)
	v_pk_add_f16 v8, v16, v17 op_sel:[0,1] op_sel_hi:[1,0]
	v_pk_add_f16 v9, v16, v17 op_sel:[0,1] op_sel_hi:[1,0] neg_lo:[0,1] neg_hi:[0,1]
	v_pk_add_f16 v16, v18, v17 op_sel:[0,1] op_sel_hi:[1,0] neg_lo:[0,1] neg_hi:[0,1]
	s_delay_alu instid0(VALU_DEP_4) | instskip(NEXT) | instid1(VALU_DEP_3)
	v_pk_add_f16 v7, v7, v17 op_sel:[0,1] op_sel_hi:[1,0] neg_lo:[0,1] neg_hi:[0,1]
	v_bfi_b32 v8, 0xffff, v8, v9
	s_delay_alu instid0(VALU_DEP_2)
	v_bfi_b32 v7, 0xffff, v16, v7
	ds_store_b32 v54, v8
	ds_store_b32 v4, v7 offset:11880
	ds_load_b32 v7, v43
	ds_load_b32 v8, v4 offset:11340
	global_load_b32 v5, v[5:6], off offset:7560
	s_wait_dscnt 0x0
	v_pk_add_f16 v6, v7, v8 neg_lo:[0,1] neg_hi:[0,1]
	v_pk_add_f16 v7, v7, v8
	s_delay_alu instid0(VALU_DEP_1) | instskip(SKIP_1) | instid1(VALU_DEP_2)
	v_bfi_b32 v8, 0xffff, v6, v7
	v_bfi_b32 v6, 0xffff, v7, v6
	v_pk_mul_f16 v7, v8, 0.5 op_sel_hi:[1,0]
	s_delay_alu instid0(VALU_DEP_2) | instskip(SKIP_1) | instid1(VALU_DEP_2)
	v_pk_mul_f16 v6, v6, 0.5 op_sel_hi:[1,0]
	s_wait_loadcnt 0x5
	v_pk_mul_f16 v9, v2, v7 op_sel_hi:[0,1]
	s_delay_alu instid0(VALU_DEP_2) | instskip(SKIP_2) | instid1(VALU_DEP_3)
	v_pk_fma_f16 v8, v2, v7, v6 op_sel:[1,0,0]
	v_pk_fma_f16 v16, v2, v7, v6 op_sel:[1,0,0] neg_lo:[1,0,0] neg_hi:[1,0,0]
	v_pk_fma_f16 v2, v2, v7, v6 op_sel:[1,0,0] neg_lo:[0,0,1] neg_hi:[0,0,1]
	v_pk_add_f16 v6, v8, v9 op_sel:[0,1] op_sel_hi:[1,0]
	v_pk_add_f16 v7, v8, v9 op_sel:[0,1] op_sel_hi:[1,0] neg_lo:[0,1] neg_hi:[0,1]
	s_delay_alu instid0(VALU_DEP_4) | instskip(NEXT) | instid1(VALU_DEP_4)
	v_pk_add_f16 v8, v16, v9 op_sel:[0,1] op_sel_hi:[1,0] neg_lo:[0,1] neg_hi:[0,1]
	v_pk_add_f16 v2, v2, v9 op_sel:[0,1] op_sel_hi:[1,0] neg_lo:[0,1] neg_hi:[0,1]
	s_delay_alu instid0(VALU_DEP_3) | instskip(NEXT) | instid1(VALU_DEP_2)
	v_bfi_b32 v6, 0xffff, v6, v7
	v_bfi_b32 v2, 0xffff, v8, v2
	ds_store_b32 v43, v6
	ds_store_b32 v4, v2 offset:11340
	ds_load_b32 v2, v44 offset:5400
	ds_load_b32 v6, v4 offset:10800
	s_wait_dscnt 0x0
	v_pk_add_f16 v7, v2, v6 neg_lo:[0,1] neg_hi:[0,1]
	v_pk_add_f16 v2, v2, v6
	s_delay_alu instid0(VALU_DEP_1) | instskip(SKIP_1) | instid1(VALU_DEP_2)
	v_bfi_b32 v6, 0xffff, v7, v2
	v_bfi_b32 v2, 0xffff, v2, v7
	v_pk_mul_f16 v6, v6, 0.5 op_sel_hi:[1,0]
	s_delay_alu instid0(VALU_DEP_2) | instskip(SKIP_1) | instid1(VALU_DEP_2)
	v_pk_mul_f16 v2, v2, 0.5 op_sel_hi:[1,0]
	s_wait_loadcnt 0x4
	v_pk_mul_f16 v8, v3, v6 op_sel_hi:[0,1]
	s_delay_alu instid0(VALU_DEP_2) | instskip(SKIP_2) | instid1(VALU_DEP_3)
	v_pk_fma_f16 v7, v3, v6, v2 op_sel:[1,0,0]
	v_pk_fma_f16 v9, v3, v6, v2 op_sel:[1,0,0] neg_lo:[1,0,0] neg_hi:[1,0,0]
	v_pk_fma_f16 v2, v3, v6, v2 op_sel:[1,0,0] neg_lo:[0,0,1] neg_hi:[0,0,1]
	v_pk_add_f16 v3, v7, v8 op_sel:[0,1] op_sel_hi:[1,0]
	v_pk_add_f16 v6, v7, v8 op_sel:[0,1] op_sel_hi:[1,0] neg_lo:[0,1] neg_hi:[0,1]
	s_delay_alu instid0(VALU_DEP_4) | instskip(NEXT) | instid1(VALU_DEP_4)
	v_pk_add_f16 v7, v9, v8 op_sel:[0,1] op_sel_hi:[1,0] neg_lo:[0,1] neg_hi:[0,1]
	v_pk_add_f16 v2, v2, v8 op_sel:[0,1] op_sel_hi:[1,0] neg_lo:[0,1] neg_hi:[0,1]
	s_delay_alu instid0(VALU_DEP_3) | instskip(NEXT) | instid1(VALU_DEP_2)
	v_bfi_b32 v3, 0xffff, v3, v6
	v_bfi_b32 v2, 0xffff, v7, v2
	ds_store_b32 v44, v3 offset:5400
	ds_store_b32 v4, v2 offset:10800
	ds_load_b32 v2, v44 offset:5940
	ds_load_b32 v3, v4 offset:10260
	s_wait_dscnt 0x0
	v_pk_add_f16 v6, v2, v3 neg_lo:[0,1] neg_hi:[0,1]
	v_pk_add_f16 v2, v2, v3
	s_delay_alu instid0(VALU_DEP_1) | instskip(SKIP_1) | instid1(VALU_DEP_2)
	v_bfi_b32 v3, 0xffff, v6, v2
	v_bfi_b32 v2, 0xffff, v2, v6
	v_pk_mul_f16 v3, v3, 0.5 op_sel_hi:[1,0]
	s_delay_alu instid0(VALU_DEP_2) | instskip(SKIP_1) | instid1(VALU_DEP_2)
	v_pk_mul_f16 v2, v2, 0.5 op_sel_hi:[1,0]
	s_wait_loadcnt 0x3
	v_pk_mul_f16 v7, v13, v3 op_sel_hi:[0,1]
	s_delay_alu instid0(VALU_DEP_2) | instskip(SKIP_2) | instid1(VALU_DEP_3)
	v_pk_fma_f16 v6, v13, v3, v2 op_sel:[1,0,0]
	v_pk_fma_f16 v8, v13, v3, v2 op_sel:[1,0,0] neg_lo:[1,0,0] neg_hi:[1,0,0]
	v_pk_fma_f16 v2, v13, v3, v2 op_sel:[1,0,0] neg_lo:[0,0,1] neg_hi:[0,0,1]
	v_pk_add_f16 v3, v6, v7 op_sel:[0,1] op_sel_hi:[1,0]
	v_pk_add_f16 v6, v6, v7 op_sel:[0,1] op_sel_hi:[1,0] neg_lo:[0,1] neg_hi:[0,1]
	s_delay_alu instid0(VALU_DEP_4) | instskip(NEXT) | instid1(VALU_DEP_4)
	v_pk_add_f16 v8, v8, v7 op_sel:[0,1] op_sel_hi:[1,0] neg_lo:[0,1] neg_hi:[0,1]
	v_pk_add_f16 v2, v2, v7 op_sel:[0,1] op_sel_hi:[1,0] neg_lo:[0,1] neg_hi:[0,1]
	s_delay_alu instid0(VALU_DEP_3) | instskip(NEXT) | instid1(VALU_DEP_2)
	v_bfi_b32 v3, 0xffff, v3, v6
	v_bfi_b32 v2, 0xffff, v8, v2
	ds_store_b32 v44, v3 offset:5940
	;; [unrolled: 27-line block ×3, first 2 shown]
	ds_store_b32 v4, v2 offset:9720
	ds_load_b32 v2, v44 offset:7020
	ds_load_b32 v3, v4 offset:9180
	s_wait_dscnt 0x0
	v_pk_add_f16 v6, v2, v3 neg_lo:[0,1] neg_hi:[0,1]
	v_pk_add_f16 v2, v2, v3
	s_delay_alu instid0(VALU_DEP_1) | instskip(SKIP_1) | instid1(VALU_DEP_2)
	v_bfi_b32 v3, 0xffff, v6, v2
	v_bfi_b32 v2, 0xffff, v2, v6
	v_pk_mul_f16 v3, v3, 0.5 op_sel_hi:[1,0]
	s_delay_alu instid0(VALU_DEP_2) | instskip(SKIP_1) | instid1(VALU_DEP_1)
	v_pk_mul_f16 v2, v2, 0.5 op_sel_hi:[1,0]
	s_wait_loadcnt 0x1
	v_pk_fma_f16 v6, v10, v3, v2 op_sel:[1,0,0]
	v_pk_mul_f16 v7, v10, v3 op_sel_hi:[0,1]
	v_pk_fma_f16 v8, v10, v3, v2 op_sel:[1,0,0] neg_lo:[1,0,0] neg_hi:[1,0,0]
	v_pk_fma_f16 v2, v10, v3, v2 op_sel:[1,0,0] neg_lo:[0,0,1] neg_hi:[0,0,1]
	s_delay_alu instid0(VALU_DEP_3) | instskip(SKIP_1) | instid1(VALU_DEP_4)
	v_pk_add_f16 v3, v6, v7 op_sel:[0,1] op_sel_hi:[1,0]
	v_pk_add_f16 v6, v6, v7 op_sel:[0,1] op_sel_hi:[1,0] neg_lo:[0,1] neg_hi:[0,1]
	v_pk_add_f16 v8, v8, v7 op_sel:[0,1] op_sel_hi:[1,0] neg_lo:[0,1] neg_hi:[0,1]
	s_delay_alu instid0(VALU_DEP_4) | instskip(NEXT) | instid1(VALU_DEP_3)
	v_pk_add_f16 v2, v2, v7 op_sel:[0,1] op_sel_hi:[1,0] neg_lo:[0,1] neg_hi:[0,1]
	v_bfi_b32 v3, 0xffff, v3, v6
	s_delay_alu instid0(VALU_DEP_2)
	v_bfi_b32 v2, 0xffff, v8, v2
	ds_store_b32 v44, v3 offset:7020
	ds_store_b32 v4, v2 offset:9180
	ds_load_b32 v2, v44 offset:7560
	ds_load_b32 v3, v4 offset:8640
	s_wait_dscnt 0x0
	v_pk_add_f16 v6, v2, v3 neg_lo:[0,1] neg_hi:[0,1]
	v_pk_add_f16 v2, v2, v3
	s_delay_alu instid0(VALU_DEP_1) | instskip(SKIP_1) | instid1(VALU_DEP_2)
	v_bfi_b32 v3, 0xffff, v6, v2
	v_bfi_b32 v2, 0xffff, v2, v6
	v_pk_mul_f16 v3, v3, 0.5 op_sel_hi:[1,0]
	s_delay_alu instid0(VALU_DEP_2) | instskip(SKIP_1) | instid1(VALU_DEP_1)
	v_pk_mul_f16 v2, v2, 0.5 op_sel_hi:[1,0]
	s_wait_loadcnt 0x0
	v_pk_fma_f16 v6, v5, v3, v2 op_sel:[1,0,0]
	v_pk_mul_f16 v7, v5, v3 op_sel_hi:[0,1]
	v_pk_fma_f16 v8, v5, v3, v2 op_sel:[1,0,0] neg_lo:[1,0,0] neg_hi:[1,0,0]
	v_pk_fma_f16 v2, v5, v3, v2 op_sel:[1,0,0] neg_lo:[0,0,1] neg_hi:[0,0,1]
	s_delay_alu instid0(VALU_DEP_3) | instskip(SKIP_1) | instid1(VALU_DEP_4)
	v_pk_add_f16 v3, v6, v7 op_sel:[0,1] op_sel_hi:[1,0]
	v_pk_add_f16 v5, v6, v7 op_sel:[0,1] op_sel_hi:[1,0] neg_lo:[0,1] neg_hi:[0,1]
	v_pk_add_f16 v6, v8, v7 op_sel:[0,1] op_sel_hi:[1,0] neg_lo:[0,1] neg_hi:[0,1]
	s_delay_alu instid0(VALU_DEP_4) | instskip(NEXT) | instid1(VALU_DEP_3)
	v_pk_add_f16 v2, v2, v7 op_sel:[0,1] op_sel_hi:[1,0] neg_lo:[0,1] neg_hi:[0,1]
	v_bfi_b32 v3, 0xffff, v3, v5
	s_delay_alu instid0(VALU_DEP_2)
	v_bfi_b32 v2, 0xffff, v6, v2
	ds_store_b32 v44, v3 offset:7560
	ds_store_b32 v4, v2 offset:8640
	global_wb scope:SCOPE_SE
	s_wait_dscnt 0x0
	s_barrier_signal -1
	s_barrier_wait -1
	global_inv scope:SCOPE_SE
	s_and_saveexec_b32 s0, vcc_lo
	s_cbranch_execz .LBB0_20
; %bb.18:
	v_add_nc_u32_e32 v6, 0x400, v44
	v_add_nc_u32_e32 v8, 0x800, v44
	v_add_co_u32 v2, vcc_lo, s8, v14
	v_add_nc_u32_e32 v10, 0xc00, v44
	ds_load_2addr_b32 v[4:5], v44 offset1:135
	v_add_nc_u32_e32 v13, 0x1000, v44
	s_wait_alu 0xfffd
	v_add_co_ci_u32_e32 v3, vcc_lo, s9, v15, vcc_lo
	v_add_nc_u32_e32 v15, 0x1400, v44
	ds_load_2addr_b32 v[6:7], v6 offset0:14 offset1:149
	v_add_nc_u32_e32 v17, 0x1800, v44
	ds_load_2addr_b32 v[8:9], v8 offset0:28 offset1:163
	ds_load_2addr_b32 v[10:11], v10 offset0:42 offset1:177
	;; [unrolled: 1-line block ×5, first 2 shown]
	v_add_co_u32 v0, vcc_lo, v2, v0
	s_wait_alu 0xfffd
	v_add_co_ci_u32_e32 v1, vcc_lo, v3, v1, vcc_lo
	v_add_nc_u32_e32 v19, 0x1c00, v44
	v_add_nc_u32_e32 v21, 0x2000, v44
	;; [unrolled: 1-line block ×8, first 2 shown]
	ds_load_2addr_b32 v[19:20], v19 offset0:98 offset1:233
	ds_load_2addr_b32 v[21:22], v21 offset0:112 offset1:247
	;; [unrolled: 1-line block ×5, first 2 shown]
	s_wait_dscnt 0xb
	s_clause 0x1
	global_store_b32 v[0:1], v4, off
	global_store_b32 v[0:1], v5, off offset:540
	s_wait_dscnt 0xa
	s_clause 0x1
	global_store_b32 v[0:1], v6, off offset:1080
	global_store_b32 v[0:1], v7, off offset:1620
	s_wait_dscnt 0x9
	s_clause 0x1
	global_store_b32 v[0:1], v8, off offset:2160
	;; [unrolled: 4-line block ×3, first 2 shown]
	global_store_b32 v[0:1], v11, off offset:3780
	ds_load_2addr_b32 v[4:5], v29 offset0:40 offset1:175
	ds_load_2addr_b32 v[6:7], v30 offset0:54 offset1:189
	;; [unrolled: 1-line block ×3, first 2 shown]
	v_cmp_eq_u32_e32 vcc_lo, 0x86, v12
	s_wait_dscnt 0xa
	s_clause 0x1
	global_store_b32 v[0:1], v13, off offset:4320
	global_store_b32 v[0:1], v14, off offset:4860
	s_wait_dscnt 0x9
	s_clause 0x1
	global_store_b32 v[0:1], v15, off offset:5400
	global_store_b32 v[0:1], v16, off offset:5940
	s_wait_dscnt 0x8
	s_clause 0x1
	global_store_b32 v[0:1], v17, off offset:6480
	global_store_b32 v[0:1], v18, off offset:7020
	s_wait_dscnt 0x7
	s_clause 0x1
	global_store_b32 v[0:1], v19, off offset:7560
	global_store_b32 v[0:1], v20, off offset:8100
	s_wait_dscnt 0x6
	s_clause 0x1
	global_store_b32 v[0:1], v21, off offset:8640
	global_store_b32 v[0:1], v22, off offset:9180
	s_wait_dscnt 0x5
	s_clause 0x1
	global_store_b32 v[0:1], v23, off offset:9720
	global_store_b32 v[0:1], v24, off offset:10260
	s_wait_dscnt 0x4
	s_clause 0x1
	global_store_b32 v[0:1], v25, off offset:10800
	global_store_b32 v[0:1], v26, off offset:11340
	s_wait_dscnt 0x3
	s_clause 0x1
	global_store_b32 v[0:1], v27, off offset:11880
	global_store_b32 v[0:1], v28, off offset:12420
	s_wait_dscnt 0x2
	s_clause 0x1
	global_store_b32 v[0:1], v4, off offset:12960
	global_store_b32 v[0:1], v5, off offset:13500
	s_wait_dscnt 0x1
	s_clause 0x1
	global_store_b32 v[0:1], v6, off offset:14040
	global_store_b32 v[0:1], v7, off offset:14580
	s_wait_dscnt 0x0
	s_clause 0x1
	global_store_b32 v[0:1], v8, off offset:15120
	global_store_b32 v[0:1], v9, off offset:15660
	s_and_b32 exec_lo, exec_lo, vcc_lo
	s_cbranch_execz .LBB0_20
; %bb.19:
	v_mov_b32_e32 v0, 0
	ds_load_b32 v0, v0 offset:16200
	s_wait_dscnt 0x0
	global_store_b32 v[2:3], v0, off offset:16200
.LBB0_20:
	s_nop 0
	s_sendmsg sendmsg(MSG_DEALLOC_VGPRS)
	s_endpgm
	.section	.rodata,"a",@progbits
	.p2align	6, 0x0
	.amdhsa_kernel fft_rtc_back_len4050_factors_10_5_3_3_3_3_wgs_135_tpt_135_halfLds_half_ip_CI_unitstride_sbrr_R2C_dirReg
		.amdhsa_group_segment_fixed_size 0
		.amdhsa_private_segment_fixed_size 0
		.amdhsa_kernarg_size 88
		.amdhsa_user_sgpr_count 2
		.amdhsa_user_sgpr_dispatch_ptr 0
		.amdhsa_user_sgpr_queue_ptr 0
		.amdhsa_user_sgpr_kernarg_segment_ptr 1
		.amdhsa_user_sgpr_dispatch_id 0
		.amdhsa_user_sgpr_private_segment_size 0
		.amdhsa_wavefront_size32 1
		.amdhsa_uses_dynamic_stack 0
		.amdhsa_enable_private_segment 0
		.amdhsa_system_sgpr_workgroup_id_x 1
		.amdhsa_system_sgpr_workgroup_id_y 0
		.amdhsa_system_sgpr_workgroup_id_z 0
		.amdhsa_system_sgpr_workgroup_info 0
		.amdhsa_system_vgpr_workitem_id 0
		.amdhsa_next_free_vgpr 115
		.amdhsa_next_free_sgpr 32
		.amdhsa_reserve_vcc 1
		.amdhsa_float_round_mode_32 0
		.amdhsa_float_round_mode_16_64 0
		.amdhsa_float_denorm_mode_32 3
		.amdhsa_float_denorm_mode_16_64 3
		.amdhsa_fp16_overflow 0
		.amdhsa_workgroup_processor_mode 1
		.amdhsa_memory_ordered 1
		.amdhsa_forward_progress 0
		.amdhsa_round_robin_scheduling 0
		.amdhsa_exception_fp_ieee_invalid_op 0
		.amdhsa_exception_fp_denorm_src 0
		.amdhsa_exception_fp_ieee_div_zero 0
		.amdhsa_exception_fp_ieee_overflow 0
		.amdhsa_exception_fp_ieee_underflow 0
		.amdhsa_exception_fp_ieee_inexact 0
		.amdhsa_exception_int_div_zero 0
	.end_amdhsa_kernel
	.text
.Lfunc_end0:
	.size	fft_rtc_back_len4050_factors_10_5_3_3_3_3_wgs_135_tpt_135_halfLds_half_ip_CI_unitstride_sbrr_R2C_dirReg, .Lfunc_end0-fft_rtc_back_len4050_factors_10_5_3_3_3_3_wgs_135_tpt_135_halfLds_half_ip_CI_unitstride_sbrr_R2C_dirReg
                                        ; -- End function
	.section	.AMDGPU.csdata,"",@progbits
; Kernel info:
; codeLenInByte = 25336
; NumSgprs: 34
; NumVgprs: 115
; ScratchSize: 0
; MemoryBound: 0
; FloatMode: 240
; IeeeMode: 1
; LDSByteSize: 0 bytes/workgroup (compile time only)
; SGPRBlocks: 4
; VGPRBlocks: 14
; NumSGPRsForWavesPerEU: 34
; NumVGPRsForWavesPerEU: 115
; Occupancy: 12
; WaveLimiterHint : 1
; COMPUTE_PGM_RSRC2:SCRATCH_EN: 0
; COMPUTE_PGM_RSRC2:USER_SGPR: 2
; COMPUTE_PGM_RSRC2:TRAP_HANDLER: 0
; COMPUTE_PGM_RSRC2:TGID_X_EN: 1
; COMPUTE_PGM_RSRC2:TGID_Y_EN: 0
; COMPUTE_PGM_RSRC2:TGID_Z_EN: 0
; COMPUTE_PGM_RSRC2:TIDIG_COMP_CNT: 0
	.text
	.p2alignl 7, 3214868480
	.fill 96, 4, 3214868480
	.type	__hip_cuid_fc29e0ab42581c1a,@object ; @__hip_cuid_fc29e0ab42581c1a
	.section	.bss,"aw",@nobits
	.globl	__hip_cuid_fc29e0ab42581c1a
__hip_cuid_fc29e0ab42581c1a:
	.byte	0                               ; 0x0
	.size	__hip_cuid_fc29e0ab42581c1a, 1

	.ident	"AMD clang version 19.0.0git (https://github.com/RadeonOpenCompute/llvm-project roc-6.4.0 25133 c7fe45cf4b819c5991fe208aaa96edf142730f1d)"
	.section	".note.GNU-stack","",@progbits
	.addrsig
	.addrsig_sym __hip_cuid_fc29e0ab42581c1a
	.amdgpu_metadata
---
amdhsa.kernels:
  - .args:
      - .actual_access:  read_only
        .address_space:  global
        .offset:         0
        .size:           8
        .value_kind:     global_buffer
      - .offset:         8
        .size:           8
        .value_kind:     by_value
      - .actual_access:  read_only
        .address_space:  global
        .offset:         16
        .size:           8
        .value_kind:     global_buffer
      - .actual_access:  read_only
        .address_space:  global
        .offset:         24
        .size:           8
        .value_kind:     global_buffer
      - .offset:         32
        .size:           8
        .value_kind:     by_value
      - .actual_access:  read_only
        .address_space:  global
        .offset:         40
        .size:           8
        .value_kind:     global_buffer
      - .actual_access:  read_only
        .address_space:  global
        .offset:         48
        .size:           8
        .value_kind:     global_buffer
      - .offset:         56
        .size:           4
        .value_kind:     by_value
      - .actual_access:  read_only
        .address_space:  global
        .offset:         64
        .size:           8
        .value_kind:     global_buffer
      - .actual_access:  read_only
        .address_space:  global
        .offset:         72
        .size:           8
        .value_kind:     global_buffer
      - .address_space:  global
        .offset:         80
        .size:           8
        .value_kind:     global_buffer
    .group_segment_fixed_size: 0
    .kernarg_segment_align: 8
    .kernarg_segment_size: 88
    .language:       OpenCL C
    .language_version:
      - 2
      - 0
    .max_flat_workgroup_size: 135
    .name:           fft_rtc_back_len4050_factors_10_5_3_3_3_3_wgs_135_tpt_135_halfLds_half_ip_CI_unitstride_sbrr_R2C_dirReg
    .private_segment_fixed_size: 0
    .sgpr_count:     34
    .sgpr_spill_count: 0
    .symbol:         fft_rtc_back_len4050_factors_10_5_3_3_3_3_wgs_135_tpt_135_halfLds_half_ip_CI_unitstride_sbrr_R2C_dirReg.kd
    .uniform_work_group_size: 1
    .uses_dynamic_stack: false
    .vgpr_count:     115
    .vgpr_spill_count: 0
    .wavefront_size: 32
    .workgroup_processor_mode: 1
amdhsa.target:   amdgcn-amd-amdhsa--gfx1201
amdhsa.version:
  - 1
  - 2
...

	.end_amdgpu_metadata
